;; amdgpu-corpus repo=ROCm/rocFFT kind=compiled arch=gfx1030 opt=O3
	.text
	.amdgcn_target "amdgcn-amd-amdhsa--gfx1030"
	.amdhsa_code_object_version 6
	.protected	fft_rtc_fwd_len3240_factors_3_3_10_6_6_wgs_108_tpt_108_halfLds_sp_ip_CI_sbrr_dirReg ; -- Begin function fft_rtc_fwd_len3240_factors_3_3_10_6_6_wgs_108_tpt_108_halfLds_sp_ip_CI_sbrr_dirReg
	.globl	fft_rtc_fwd_len3240_factors_3_3_10_6_6_wgs_108_tpt_108_halfLds_sp_ip_CI_sbrr_dirReg
	.p2align	8
	.type	fft_rtc_fwd_len3240_factors_3_3_10_6_6_wgs_108_tpt_108_halfLds_sp_ip_CI_sbrr_dirReg,@function
fft_rtc_fwd_len3240_factors_3_3_10_6_6_wgs_108_tpt_108_halfLds_sp_ip_CI_sbrr_dirReg: ; @fft_rtc_fwd_len3240_factors_3_3_10_6_6_wgs_108_tpt_108_halfLds_sp_ip_CI_sbrr_dirReg
; %bb.0:
	s_clause 0x2
	s_load_dwordx2 s[14:15], s[4:5], 0x18
	s_load_dwordx4 s[8:11], s[4:5], 0x0
	s_load_dwordx2 s[12:13], s[4:5], 0x50
	v_mul_u32_u24_e32 v1, 0x25f, v0
	v_mov_b32_e32 v3, 0
	v_add_nc_u32_sdwa v5, s6, v1 dst_sel:DWORD dst_unused:UNUSED_PAD src0_sel:DWORD src1_sel:WORD_1
	v_mov_b32_e32 v1, 0
	v_mov_b32_e32 v6, v3
	v_mov_b32_e32 v2, 0
	s_waitcnt lgkmcnt(0)
	s_load_dwordx2 s[2:3], s[14:15], 0x0
	v_cmp_lt_u64_e64 s0, s[10:11], 2
	s_and_b32 vcc_lo, exec_lo, s0
	s_cbranch_vccnz .LBB0_8
; %bb.1:
	s_load_dwordx2 s[0:1], s[4:5], 0x10
	v_mov_b32_e32 v1, 0
	s_add_u32 s6, s14, 8
	v_mov_b32_e32 v2, 0
	s_addc_u32 s7, s15, 0
	s_mov_b64 s[18:19], 1
	s_waitcnt lgkmcnt(0)
	s_add_u32 s16, s0, 8
	s_addc_u32 s17, s1, 0
.LBB0_2:                                ; =>This Inner Loop Header: Depth=1
	s_load_dwordx2 s[20:21], s[16:17], 0x0
                                        ; implicit-def: $vgpr7_vgpr8
	s_mov_b32 s0, exec_lo
	s_waitcnt lgkmcnt(0)
	v_or_b32_e32 v4, s21, v6
	v_cmpx_ne_u64_e32 0, v[3:4]
	s_xor_b32 s1, exec_lo, s0
	s_cbranch_execz .LBB0_4
; %bb.3:                                ;   in Loop: Header=BB0_2 Depth=1
	v_cvt_f32_u32_e32 v4, s20
	v_cvt_f32_u32_e32 v7, s21
	s_sub_u32 s0, 0, s20
	s_subb_u32 s22, 0, s21
	v_fmac_f32_e32 v4, 0x4f800000, v7
	v_rcp_f32_e32 v4, v4
	v_mul_f32_e32 v4, 0x5f7ffffc, v4
	v_mul_f32_e32 v7, 0x2f800000, v4
	v_trunc_f32_e32 v7, v7
	v_fmac_f32_e32 v4, 0xcf800000, v7
	v_cvt_u32_f32_e32 v7, v7
	v_cvt_u32_f32_e32 v4, v4
	v_mul_lo_u32 v8, s0, v7
	v_mul_hi_u32 v9, s0, v4
	v_mul_lo_u32 v10, s22, v4
	v_add_nc_u32_e32 v8, v9, v8
	v_mul_lo_u32 v9, s0, v4
	v_add_nc_u32_e32 v8, v8, v10
	v_mul_hi_u32 v10, v4, v9
	v_mul_lo_u32 v11, v4, v8
	v_mul_hi_u32 v12, v4, v8
	v_mul_hi_u32 v13, v7, v9
	v_mul_lo_u32 v9, v7, v9
	v_mul_hi_u32 v14, v7, v8
	v_mul_lo_u32 v8, v7, v8
	v_add_co_u32 v10, vcc_lo, v10, v11
	v_add_co_ci_u32_e32 v11, vcc_lo, 0, v12, vcc_lo
	v_add_co_u32 v9, vcc_lo, v10, v9
	v_add_co_ci_u32_e32 v9, vcc_lo, v11, v13, vcc_lo
	v_add_co_ci_u32_e32 v10, vcc_lo, 0, v14, vcc_lo
	v_add_co_u32 v8, vcc_lo, v9, v8
	v_add_co_ci_u32_e32 v9, vcc_lo, 0, v10, vcc_lo
	v_add_co_u32 v4, vcc_lo, v4, v8
	v_add_co_ci_u32_e32 v7, vcc_lo, v7, v9, vcc_lo
	v_mul_hi_u32 v8, s0, v4
	v_mul_lo_u32 v10, s22, v4
	v_mul_lo_u32 v9, s0, v7
	v_add_nc_u32_e32 v8, v8, v9
	v_mul_lo_u32 v9, s0, v4
	v_add_nc_u32_e32 v8, v8, v10
	v_mul_hi_u32 v10, v4, v9
	v_mul_lo_u32 v11, v4, v8
	v_mul_hi_u32 v12, v4, v8
	v_mul_hi_u32 v13, v7, v9
	v_mul_lo_u32 v9, v7, v9
	v_mul_hi_u32 v14, v7, v8
	v_mul_lo_u32 v8, v7, v8
	v_add_co_u32 v10, vcc_lo, v10, v11
	v_add_co_ci_u32_e32 v11, vcc_lo, 0, v12, vcc_lo
	v_add_co_u32 v9, vcc_lo, v10, v9
	v_add_co_ci_u32_e32 v9, vcc_lo, v11, v13, vcc_lo
	v_add_co_ci_u32_e32 v10, vcc_lo, 0, v14, vcc_lo
	v_add_co_u32 v8, vcc_lo, v9, v8
	v_add_co_ci_u32_e32 v9, vcc_lo, 0, v10, vcc_lo
	v_add_co_u32 v4, vcc_lo, v4, v8
	v_add_co_ci_u32_e32 v11, vcc_lo, v7, v9, vcc_lo
	v_mul_hi_u32 v13, v5, v4
	v_mad_u64_u32 v[9:10], null, v6, v4, 0
	v_mad_u64_u32 v[7:8], null, v5, v11, 0
	;; [unrolled: 1-line block ×3, first 2 shown]
	v_add_co_u32 v4, vcc_lo, v13, v7
	v_add_co_ci_u32_e32 v7, vcc_lo, 0, v8, vcc_lo
	v_add_co_u32 v4, vcc_lo, v4, v9
	v_add_co_ci_u32_e32 v4, vcc_lo, v7, v10, vcc_lo
	v_add_co_ci_u32_e32 v7, vcc_lo, 0, v12, vcc_lo
	v_add_co_u32 v4, vcc_lo, v4, v11
	v_add_co_ci_u32_e32 v9, vcc_lo, 0, v7, vcc_lo
	v_mul_lo_u32 v10, s21, v4
	v_mad_u64_u32 v[7:8], null, s20, v4, 0
	v_mul_lo_u32 v11, s20, v9
	v_sub_co_u32 v7, vcc_lo, v5, v7
	v_add3_u32 v8, v8, v11, v10
	v_sub_nc_u32_e32 v10, v6, v8
	v_subrev_co_ci_u32_e64 v10, s0, s21, v10, vcc_lo
	v_add_co_u32 v11, s0, v4, 2
	v_add_co_ci_u32_e64 v12, s0, 0, v9, s0
	v_sub_co_u32 v13, s0, v7, s20
	v_sub_co_ci_u32_e32 v8, vcc_lo, v6, v8, vcc_lo
	v_subrev_co_ci_u32_e64 v10, s0, 0, v10, s0
	v_cmp_le_u32_e32 vcc_lo, s20, v13
	v_cmp_eq_u32_e64 s0, s21, v8
	v_cndmask_b32_e64 v13, 0, -1, vcc_lo
	v_cmp_le_u32_e32 vcc_lo, s21, v10
	v_cndmask_b32_e64 v14, 0, -1, vcc_lo
	v_cmp_le_u32_e32 vcc_lo, s20, v7
	;; [unrolled: 2-line block ×3, first 2 shown]
	v_cndmask_b32_e64 v15, 0, -1, vcc_lo
	v_cmp_eq_u32_e32 vcc_lo, s21, v10
	v_cndmask_b32_e64 v7, v15, v7, s0
	v_cndmask_b32_e32 v10, v14, v13, vcc_lo
	v_add_co_u32 v13, vcc_lo, v4, 1
	v_add_co_ci_u32_e32 v14, vcc_lo, 0, v9, vcc_lo
	v_cmp_ne_u32_e32 vcc_lo, 0, v10
	v_cndmask_b32_e32 v8, v14, v12, vcc_lo
	v_cndmask_b32_e32 v10, v13, v11, vcc_lo
	v_cmp_ne_u32_e32 vcc_lo, 0, v7
	v_cndmask_b32_e32 v8, v9, v8, vcc_lo
	v_cndmask_b32_e32 v7, v4, v10, vcc_lo
.LBB0_4:                                ;   in Loop: Header=BB0_2 Depth=1
	s_andn2_saveexec_b32 s0, s1
	s_cbranch_execz .LBB0_6
; %bb.5:                                ;   in Loop: Header=BB0_2 Depth=1
	v_cvt_f32_u32_e32 v4, s20
	s_sub_i32 s1, 0, s20
	v_rcp_iflag_f32_e32 v4, v4
	v_mul_f32_e32 v4, 0x4f7ffffe, v4
	v_cvt_u32_f32_e32 v4, v4
	v_mul_lo_u32 v7, s1, v4
	v_mul_hi_u32 v7, v4, v7
	v_add_nc_u32_e32 v4, v4, v7
	v_mul_hi_u32 v4, v5, v4
	v_mul_lo_u32 v7, v4, s20
	v_add_nc_u32_e32 v8, 1, v4
	v_sub_nc_u32_e32 v7, v5, v7
	v_subrev_nc_u32_e32 v9, s20, v7
	v_cmp_le_u32_e32 vcc_lo, s20, v7
	v_cndmask_b32_e32 v7, v7, v9, vcc_lo
	v_cndmask_b32_e32 v4, v4, v8, vcc_lo
	v_cmp_le_u32_e32 vcc_lo, s20, v7
	v_add_nc_u32_e32 v8, 1, v4
	v_cndmask_b32_e32 v7, v4, v8, vcc_lo
	v_mov_b32_e32 v8, v3
.LBB0_6:                                ;   in Loop: Header=BB0_2 Depth=1
	s_or_b32 exec_lo, exec_lo, s0
	s_load_dwordx2 s[0:1], s[6:7], 0x0
	v_mul_lo_u32 v4, v8, s20
	v_mul_lo_u32 v11, v7, s21
	v_mad_u64_u32 v[9:10], null, v7, s20, 0
	s_add_u32 s18, s18, 1
	s_addc_u32 s19, s19, 0
	s_add_u32 s6, s6, 8
	s_addc_u32 s7, s7, 0
	;; [unrolled: 2-line block ×3, first 2 shown]
	v_add3_u32 v4, v10, v11, v4
	v_sub_co_u32 v5, vcc_lo, v5, v9
	v_sub_co_ci_u32_e32 v4, vcc_lo, v6, v4, vcc_lo
	s_waitcnt lgkmcnt(0)
	v_mul_lo_u32 v6, s1, v5
	v_mul_lo_u32 v4, s0, v4
	v_mad_u64_u32 v[1:2], null, s0, v5, v[1:2]
	v_cmp_ge_u64_e64 s0, s[18:19], s[10:11]
	s_and_b32 vcc_lo, exec_lo, s0
	v_add3_u32 v2, v6, v2, v4
	s_cbranch_vccnz .LBB0_9
; %bb.7:                                ;   in Loop: Header=BB0_2 Depth=1
	v_mov_b32_e32 v5, v7
	v_mov_b32_e32 v6, v8
	s_branch .LBB0_2
.LBB0_8:
	v_mov_b32_e32 v8, v6
	v_mov_b32_e32 v7, v5
.LBB0_9:
	s_lshl_b64 s[0:1], s[10:11], 3
	v_mul_hi_u32 v3, 0x25ed098, v0
	s_add_u32 s0, s14, s0
	s_addc_u32 s1, s15, s1
	s_load_dwordx2 s[4:5], s[4:5], 0x20
	s_load_dwordx2 s[0:1], s[0:1], 0x0
                                        ; implicit-def: $vgpr102
                                        ; implicit-def: $vgpr103
                                        ; implicit-def: $vgpr104
                                        ; implicit-def: $vgpr105
                                        ; implicit-def: $vgpr131
                                        ; implicit-def: $vgpr130
                                        ; implicit-def: $vgpr129
                                        ; implicit-def: $vgpr128
	v_mul_u32_u24_e32 v3, 0x6c, v3
	v_sub_nc_u32_e32 v99, v0, v3
	v_add_nc_u32_e32 v93, 0x6c, v99
	v_add_nc_u32_e32 v87, 0xd8, v99
	;; [unrolled: 1-line block ×5, first 2 shown]
	s_waitcnt lgkmcnt(0)
	v_cmp_gt_u64_e32 vcc_lo, s[4:5], v[7:8]
	v_mul_lo_u32 v3, s0, v8
	v_mul_lo_u32 v4, s1, v7
	v_mad_u64_u32 v[0:1], null, s0, v7, v[1:2]
	v_cmp_le_u64_e64 s0, s[4:5], v[7:8]
	v_add_nc_u32_e32 v90, 0x288, v99
	v_add_nc_u32_e32 v85, 0x2f4, v99
	;; [unrolled: 1-line block ×4, first 2 shown]
	v_add3_u32 v1, v4, v1, v3
	s_and_saveexec_b32 s1, s0
	s_xor_b32 s0, exec_lo, s1
; %bb.10:
	v_add_nc_u32_e32 v102, 0x6c, v99
	v_add_nc_u32_e32 v103, 0xd8, v99
	;; [unrolled: 1-line block ×9, first 2 shown]
; %bb.11:
	s_or_saveexec_b32 s1, s0
	v_lshlrev_b64 v[0:1], 3, v[0:1]
	v_add_nc_u32_e32 v100, 0x438, v99
	v_add_nc_u32_e32 v97, 0x870, v99
	;; [unrolled: 1-line block ×16, first 2 shown]
                                        ; implicit-def: $vgpr20
                                        ; implicit-def: $vgpr18
                                        ; implicit-def: $vgpr4
                                        ; implicit-def: $vgpr22
                                        ; implicit-def: $vgpr24
                                        ; implicit-def: $vgpr6
                                        ; implicit-def: $vgpr26
                                        ; implicit-def: $vgpr28
                                        ; implicit-def: $vgpr8
                                        ; implicit-def: $vgpr30
                                        ; implicit-def: $vgpr32
                                        ; implicit-def: $vgpr10
                                        ; implicit-def: $vgpr34
                                        ; implicit-def: $vgpr36
                                        ; implicit-def: $vgpr12
                                        ; implicit-def: $vgpr38
                                        ; implicit-def: $vgpr40
                                        ; implicit-def: $vgpr14
                                        ; implicit-def: $vgpr42
                                        ; implicit-def: $vgpr44
                                        ; implicit-def: $vgpr16
                                        ; implicit-def: $vgpr52
                                        ; implicit-def: $vgpr56
                                        ; implicit-def: $vgpr46
                                        ; implicit-def: $vgpr54
                                        ; implicit-def: $vgpr58
                                        ; implicit-def: $vgpr48
                                        ; implicit-def: $vgpr62
                                        ; implicit-def: $vgpr60
                                        ; implicit-def: $vgpr50
	s_xor_b32 exec_lo, exec_lo, s1
	s_cbranch_execz .LBB0_13
; %bb.12:
	v_mad_u64_u32 v[4:5], null, s2, v99, 0
	v_mad_u64_u32 v[6:7], null, s2, v100, 0
	;; [unrolled: 1-line block ×4, first 2 shown]
	v_mov_b32_e32 v2, v5
	v_mad_u64_u32 v[27:28], null, s2, v83, 0
	v_mov_b32_e32 v3, v7
	v_add_nc_u32_e32 v37, 0x5e8, v99
	v_mad_u64_u32 v[32:33], null, s2, v77, 0
	v_mad_u64_u32 v[43:44], null, s2, v90, 0
	;; [unrolled: 1-line block ×4, first 2 shown]
	v_mov_b32_e32 v2, v9
	v_mad_u64_u32 v[13:14], null, s3, v100, v[3:4]
	v_mad_u64_u32 v[50:51], null, s2, v85, 0
	;; [unrolled: 1-line block ×3, first 2 shown]
	v_mov_b32_e32 v5, v10
	v_mad_u64_u32 v[15:16], null, s2, v94, 0
	v_mov_b32_e32 v10, v12
	v_mov_b32_e32 v7, v13
	v_lshlrev_b64 v[4:5], 3, v[4:5]
	v_mov_b32_e32 v9, v14
	v_add_co_u32 v2, s0, s12, v0
	v_mad_u64_u32 v[12:13], null, s3, v93, v[10:11]
	v_mad_u64_u32 v[13:14], null, s2, v91, 0
	v_mov_b32_e32 v10, v16
	v_add_co_ci_u32_e64 v3, s0, s13, v1, s0
	v_lshlrev_b64 v[6:7], 3, v[6:7]
	v_add_co_u32 v4, s0, v2, v4
	v_mad_u64_u32 v[16:17], null, s3, v94, v[10:11]
	v_lshlrev_b64 v[11:12], 3, v[11:12]
	v_lshlrev_b64 v[8:9], 3, v[8:9]
	v_mov_b32_e32 v10, v14
	v_mad_u64_u32 v[17:18], null, s2, v87, 0
	v_add_co_ci_u32_e64 v5, s0, v3, v5, s0
	v_add_co_u32 v6, s0, v2, v6
	v_add_co_ci_u32_e64 v7, s0, v3, v7, s0
	v_mad_u64_u32 v[19:20], null, s3, v91, v[10:11]
	v_add_co_u32 v8, s0, v2, v8
	v_mad_u64_u32 v[20:21], null, s2, v89, 0
	v_add_co_ci_u32_e64 v9, s0, v3, v9, s0
	v_mov_b32_e32 v10, v18
	v_add_co_u32 v11, s0, v2, v11
	v_mov_b32_e32 v14, v19
	v_lshlrev_b64 v[15:16], 3, v[15:16]
	v_add_co_ci_u32_e64 v12, s0, v3, v12, s0
	v_mad_u64_u32 v[18:19], null, s3, v87, v[10:11]
	v_mov_b32_e32 v10, v21
	v_lshlrev_b64 v[13:14], 3, v[13:14]
	v_add_co_u32 v15, s0, v2, v15
	v_add_co_ci_u32_e64 v16, s0, v3, v16, s0
	v_mad_u64_u32 v[24:25], null, s3, v89, v[10:11]
	v_mad_u64_u32 v[25:26], null, s2, v81, 0
	v_mov_b32_e32 v10, v23
	v_lshlrev_b64 v[17:18], 3, v[17:18]
	v_add_co_u32 v13, s0, v2, v13
	v_mov_b32_e32 v21, v24
	v_mad_u64_u32 v[23:24], null, s3, v84, v[10:11]
	v_mov_b32_e32 v10, v26
	v_add_co_ci_u32_e64 v14, s0, v3, v14, s0
	v_lshlrev_b64 v[19:20], 3, v[20:21]
	v_add_co_u32 v17, s0, v2, v17
	v_mad_u64_u32 v[29:30], null, s3, v81, v[10:11]
	v_mad_u64_u32 v[30:31], null, s2, v78, 0
	v_mov_b32_e32 v10, v28
	v_lshlrev_b64 v[21:22], 3, v[22:23]
	v_add_co_ci_u32_e64 v18, s0, v3, v18, s0
	v_mov_b32_e32 v26, v29
	v_mad_u64_u32 v[23:24], null, s3, v83, v[10:11]
	v_mov_b32_e32 v10, v31
	v_add_co_u32 v19, s0, v2, v19
	v_lshlrev_b64 v[24:25], 3, v[25:26]
	v_add_co_ci_u32_e64 v20, s0, v3, v20, s0
	v_mad_u64_u32 v[34:35], null, s3, v78, v[10:11]
	v_mad_u64_u32 v[35:36], null, s2, v37, 0
	v_add_co_u32 v21, s0, v2, v21
	v_mov_b32_e32 v28, v23
	v_mov_b32_e32 v10, v33
	;; [unrolled: 1-line block ×3, first 2 shown]
	v_add_nc_u32_e32 v34, 0xa20, v99
	v_add_co_ci_u32_e64 v22, s0, v3, v22, s0
	v_add_co_u32 v23, s0, v2, v24
	v_add_co_ci_u32_e64 v24, s0, v3, v25, s0
	v_lshlrev_b64 v[25:26], 3, v[27:28]
	v_mad_u64_u32 v[27:28], null, s3, v77, v[10:11]
	v_mov_b32_e32 v10, v36
	v_mad_u64_u32 v[28:29], null, s2, v34, 0
	v_lshlrev_b64 v[30:31], 3, v[30:31]
	v_add_co_u32 v25, s0, v2, v25
	v_mad_u64_u32 v[36:37], null, s3, v37, v[10:11]
	v_mad_u64_u32 v[37:38], null, s2, v96, 0
	v_mov_b32_e32 v10, v29
	v_mov_b32_e32 v33, v27
	v_add_co_ci_u32_e64 v26, s0, v3, v26, s0
	v_add_co_u32 v30, s0, v2, v30
	v_mad_u64_u32 v[39:40], null, s3, v34, v[10:11]
	v_mov_b32_e32 v10, v38
	v_lshlrev_b64 v[32:33], 3, v[32:33]
	v_lshlrev_b64 v[34:35], 3, v[35:36]
	v_add_co_ci_u32_e64 v31, s0, v3, v31, s0
	v_mad_u64_u32 v[40:41], null, s3, v96, v[10:11]
	v_mad_u64_u32 v[41:42], null, s2, v101, 0
	v_mov_b32_e32 v29, v39
	v_add_co_u32 v32, s0, v2, v32
	v_add_co_ci_u32_e64 v33, s0, v3, v33, s0
	v_mov_b32_e32 v38, v40
	v_mov_b32_e32 v10, v42
	v_mad_u64_u32 v[39:40], null, s2, v98, 0
	v_lshlrev_b64 v[27:28], 3, v[28:29]
	v_mov_b32_e32 v29, v44
	v_mad_u64_u32 v[45:46], null, s3, v101, v[10:11]
	v_add_co_u32 v34, s0, v2, v34
	v_mov_b32_e32 v10, v40
	v_lshlrev_b64 v[36:37], 3, v[37:38]
	v_add_co_ci_u32_e64 v35, s0, v3, v35, s0
	v_mov_b32_e32 v42, v45
	v_mad_u64_u32 v[44:45], null, s3, v98, v[10:11]
	v_mad_u64_u32 v[45:46], null, s2, v95, 0
	v_add_co_u32 v27, s0, v2, v27
	v_mad_u64_u32 v[47:48], null, s3, v90, v[29:30]
	v_add_co_ci_u32_e64 v28, s0, v3, v28, s0
	v_mad_u64_u32 v[48:49], null, s2, v92, 0
	v_add_co_u32 v63, s0, v2, v36
	v_mov_b32_e32 v10, v46
	v_add_co_ci_u32_e64 v64, s0, v3, v37, s0
	v_lshlrev_b64 v[36:37], 3, v[41:42]
	v_mov_b32_e32 v40, v44
	v_mad_u64_u32 v[41:42], null, s3, v95, v[10:11]
	v_mov_b32_e32 v10, v49
	v_mov_b32_e32 v44, v47
	v_add_co_u32 v65, s0, v2, v36
	v_add_co_ci_u32_e64 v66, s0, v3, v37, s0
	v_lshlrev_b64 v[36:37], 3, v[39:40]
	v_mad_u64_u32 v[38:39], null, s3, v92, v[10:11]
	v_mov_b32_e32 v46, v41
	v_mov_b32_e32 v10, v51
	v_mad_u64_u32 v[41:42], null, s2, v88, 0
	v_add_co_u32 v67, s0, v2, v36
	v_lshlrev_b64 v[39:40], 3, v[43:44]
	v_add_co_ci_u32_e64 v68, s0, v3, v37, s0
	v_mad_u64_u32 v[36:37], null, s3, v85, v[10:11]
	v_mov_b32_e32 v49, v38
	v_lshlrev_b64 v[37:38], 3, v[45:46]
	v_mov_b32_e32 v10, v42
	v_add_co_u32 v69, s0, v2, v39
	v_add_co_ci_u32_e64 v70, s0, v3, v40, s0
	v_lshlrev_b64 v[39:40], 3, v[48:49]
	v_mov_b32_e32 v51, v36
	v_add_co_u32 v71, s0, v2, v37
	v_mad_u64_u32 v[36:37], null, s2, v86, 0
	v_mad_u64_u32 v[45:46], null, s3, v88, v[10:11]
	v_add_co_ci_u32_e64 v72, s0, v3, v38, s0
	v_add_co_u32 v73, s0, v2, v39
	v_mad_u64_u32 v[38:39], null, s2, v80, 0
	v_mov_b32_e32 v10, v37
	v_mov_b32_e32 v42, v45
	v_lshlrev_b64 v[43:44], 3, v[50:51]
	v_add_co_ci_u32_e64 v74, s0, v3, v40, s0
	v_mad_u64_u32 v[45:46], null, s3, v86, v[10:11]
	v_mov_b32_e32 v10, v39
	v_lshlrev_b64 v[39:40], 3, v[41:42]
	v_mad_u64_u32 v[41:42], null, s2, v82, 0
	v_add_co_u32 v75, s0, v2, v43
	v_add_co_ci_u32_e64 v76, s0, v3, v44, s0
	v_mad_u64_u32 v[43:44], null, s3, v80, v[10:11]
	v_mov_b32_e32 v10, v42
	v_mov_b32_e32 v37, v45
	v_add_co_u32 v102, s0, v2, v39
	v_add_nc_u32_e32 v52, 0xc3c, v99
	v_mad_u64_u32 v[45:46], null, s3, v82, v[10:11]
	v_mov_b32_e32 v39, v43
	v_mad_u64_u32 v[43:44], null, s2, v79, 0
	v_mad_u64_u32 v[46:47], null, s2, v125, 0
	v_lshlrev_b64 v[36:37], 3, v[36:37]
	v_mov_b32_e32 v42, v45
	v_add_nc_u32_e32 v45, 0x804, v99
	v_add_co_ci_u32_e64 v103, s0, v3, v40, s0
	v_mov_b32_e32 v10, v44
	v_add_co_u32 v104, s0, v2, v36
	v_mad_u64_u32 v[48:49], null, s2, v45, 0
	v_mov_b32_e32 v29, v47
	v_mad_u64_u32 v[50:51], null, s2, v52, 0
	v_add_co_ci_u32_e64 v105, s0, v3, v37, s0
	v_lshlrev_b64 v[36:37], 3, v[38:39]
	v_mad_u64_u32 v[38:39], null, s3, v79, v[10:11]
	v_mad_u64_u32 v[39:40], null, s3, v125, v[29:30]
	v_mov_b32_e32 v10, v49
	v_add_co_u32 v106, s0, v2, v36
	v_mov_b32_e32 v29, v51
	v_add_co_ci_u32_e64 v107, s0, v3, v37, s0
	v_mov_b32_e32 v44, v38
	v_lshlrev_b64 v[36:37], 3, v[41:42]
	v_mad_u64_u32 v[40:41], null, s3, v45, v[10:11]
	v_mov_b32_e32 v47, v39
	v_mad_u64_u32 v[41:42], null, s3, v52, v[29:30]
	v_lshlrev_b64 v[38:39], 3, v[43:44]
	v_add_co_u32 v108, s0, v2, v36
	v_add_co_ci_u32_e64 v109, s0, v3, v37, s0
	v_lshlrev_b64 v[36:37], 3, v[46:47]
	v_mov_b32_e32 v49, v40
	v_add_co_u32 v110, s0, v2, v38
	v_mov_b32_e32 v51, v41
	v_add_co_ci_u32_e64 v111, s0, v3, v39, s0
	v_lshlrev_b64 v[38:39], 3, v[48:49]
	v_add_co_u32 v112, s0, v2, v36
	v_add_co_ci_u32_e64 v113, s0, v3, v37, s0
	v_lshlrev_b64 v[36:37], 3, v[50:51]
	v_add_co_u32 v114, s0, v2, v38
	v_add_co_ci_u32_e64 v115, s0, v3, v39, s0
	v_mov_b32_e32 v128, v80
	v_add_co_u32 v116, s0, v2, v36
	v_add_co_ci_u32_e64 v117, s0, v3, v37, s0
	s_clause 0x1d
	global_load_dwordx2 v[49:50], v[4:5], off
	global_load_dwordx2 v[59:60], v[6:7], off
	;; [unrolled: 1-line block ×30, first 2 shown]
	v_mov_b32_e32 v129, v85
	v_mov_b32_e32 v130, v90
	;; [unrolled: 1-line block ×7, first 2 shown]
.LBB0_13:
	s_or_b32 exec_lo, exec_lo, s1
	s_waitcnt vmcnt(27)
	v_add_f32_e32 v2, v61, v59
	v_add_f32_e32 v63, v59, v49
	v_sub_f32_e32 v64, v60, v62
	v_add_f32_e32 v65, v60, v50
	v_sub_f32_e32 v139, v59, v61
	v_fmac_f32_e32 v49, -0.5, v2
	v_add_f32_e32 v2, v62, v60
	s_waitcnt vmcnt(24)
	v_add_f32_e32 v60, v53, v57
	v_add_f32_e32 v138, v62, v65
	s_waitcnt vmcnt(21)
	v_add_f32_e32 v59, v51, v55
	v_fmamk_f32 v62, v64, 0x3f5db3d7, v49
	v_fmac_f32_e32 v49, 0xbf5db3d7, v64
	v_add_f32_e32 v64, v57, v47
	v_fmac_f32_e32 v47, -0.5, v60
	v_sub_f32_e32 v60, v58, v54
	v_add_f32_e32 v63, v61, v63
	v_fmac_f32_e32 v50, -0.5, v2
	v_add_f32_e32 v2, v53, v64
	v_add_f32_e32 v64, v55, v45
	v_fmamk_f32 v61, v60, 0x3f5db3d7, v47
	v_fmac_f32_e32 v47, 0xbf5db3d7, v60
	s_waitcnt vmcnt(18)
	v_add_f32_e32 v60, v41, v43
	v_fmac_f32_e32 v45, -0.5, v59
	v_sub_f32_e32 v59, v56, v52
	v_add_f32_e32 v65, v43, v15
	s_waitcnt vmcnt(16)
	v_add_f32_e32 v68, v39, v13
	v_fmac_f32_e32 v15, -0.5, v60
	v_sub_f32_e32 v60, v44, v42
	v_fmamk_f32 v66, v59, 0x3f5db3d7, v45
	v_fmac_f32_e32 v45, 0xbf5db3d7, v59
	v_add_f32_e32 v59, v41, v65
	s_waitcnt vmcnt(15)
	v_add_f32_e32 v65, v37, v39
	v_fmamk_f32 v67, v60, 0x3f5db3d7, v15
	v_fmac_f32_e32 v15, 0xbf5db3d7, v60
	s_waitcnt vmcnt(12)
	v_add_f32_e32 v60, v33, v35
	v_add_f32_e32 v69, v35, v11
	v_fmac_f32_e32 v13, -0.5, v65
	v_sub_f32_e32 v65, v40, v38
	s_waitcnt vmcnt(10)
	v_add_f32_e32 v72, v31, v9
	v_fmac_f32_e32 v11, -0.5, v60
	v_sub_f32_e32 v60, v36, v34
	s_waitcnt vmcnt(7)
	v_add_f32_e32 v73, v27, v7
	v_fmamk_f32 v70, v65, 0x3f5db3d7, v13
	v_fmac_f32_e32 v13, 0xbf5db3d7, v65
	v_add_f32_e32 v65, v33, v69
	v_add_f32_e32 v69, v29, v31
	v_fmamk_f32 v71, v60, 0x3f5db3d7, v11
	v_fmac_f32_e32 v11, 0xbf5db3d7, v60
	s_waitcnt vmcnt(6)
	v_add_f32_e32 v60, v25, v27
	v_mad_u32_u24 v140, v99, 12, 0
	v_fmac_f32_e32 v9, -0.5, v69
	v_sub_f32_e32 v69, v32, v30
	v_mad_i32_i24 v141, v102, 12, 0
	v_fmac_f32_e32 v7, -0.5, v60
	v_sub_f32_e32 v60, v28, v26
	v_add_f32_e32 v64, v51, v64
	v_fmamk_f32 v74, v69, 0x3f5db3d7, v9
	v_fmac_f32_e32 v9, 0xbf5db3d7, v69
	v_add_f32_e32 v69, v25, v73
	s_waitcnt vmcnt(3)
	v_add_f32_e32 v73, v21, v23
	v_fmamk_f32 v75, v60, 0x3f5db3d7, v7
	v_fmac_f32_e32 v7, 0xbf5db3d7, v60
	s_waitcnt vmcnt(0)
	v_add_f32_e32 v60, v19, v17
	v_mad_i32_i24 v142, v103, 12, 0
	v_add_f32_e32 v76, v23, v5
	v_fmac_f32_e32 v5, -0.5, v73
	v_sub_f32_e32 v73, v24, v22
	ds_write2_b32 v140, v63, v62 offset1:1
	ds_write_b32 v140, v49 offset:8
	ds_write2_b32 v141, v2, v61 offset1:1
	v_mad_i32_i24 v49, v104, 12, 0
	v_add_f32_e32 v106, v17, v3
	v_fmac_f32_e32 v3, -0.5, v60
	v_sub_f32_e32 v60, v18, v20
	v_add_f32_e32 v72, v29, v72
	ds_write_b32 v141, v47 offset:8
	ds_write2_b32 v142, v64, v66 offset1:1
	v_mad_i32_i24 v47, v105, 12, 0
	v_mad_i32_i24 v143, v130, 12, 0
	;; [unrolled: 1-line block ×3, first 2 shown]
	v_add_f32_e32 v68, v37, v68
	ds_write_b32 v142, v45 offset:8
	ds_write2_b32 v49, v59, v67 offset1:1
	v_mad_i32_i24 v45, v131, 12, 0
	v_add_f32_e32 v76, v21, v76
	v_fmamk_f32 v107, v73, 0x3f5db3d7, v5
	v_mad_i32_i24 v145, v128, 12, 0
	v_fmac_f32_e32 v5, 0xbf5db3d7, v73
	v_add_f32_e32 v73, v19, v106
	v_fmamk_f32 v106, v60, 0x3f5db3d7, v3
	v_mad_i32_i24 v146, v125, 12, 0
	v_fmac_f32_e32 v3, 0xbf5db3d7, v60
	ds_write_b32 v49, v15 offset:8
	ds_write2_b32 v47, v68, v70 offset1:1
	ds_write_b32 v47, v13 offset:8
	ds_write2_b32 v45, v65, v71 offset1:1
	;; [unrolled: 2-line block ×6, first 2 shown]
	v_lshl_add_u32 v106, v99, 2, 0
	v_lshlrev_b32_e32 v5, 3, v128
	v_lshlrev_b32_e32 v7, 3, v125
	;; [unrolled: 1-line block ×4, first 2 shown]
	ds_write_b32 v146, v3 offset:8
	v_lshlrev_b32_e32 v2, 3, v130
	v_lshlrev_b32_e32 v3, 3, v129
	;; [unrolled: 1-line block ×3, first 2 shown]
	v_sub_nc_u32_e32 v136, v145, v5
	v_add_nc_u32_e32 v120, 0x2e00, v106
	v_fmamk_f32 v147, v139, 0xbf5db3d7, v50
	v_lshl_add_u32 v107, v102, 2, 0
	v_sub_nc_u32_e32 v126, v146, v7
	v_add_nc_u32_e32 v109, 0x1000, v106
	v_lshl_add_u32 v108, v103, 2, 0
	v_add_nc_u32_e32 v111, 0x2000, v106
	v_sub_nc_u32_e32 v122, v49, v113
	v_add_nc_u32_e32 v110, 0x1400, v106
	v_sub_nc_u32_e32 v123, v47, v114
	s_waitcnt lgkmcnt(0)
	s_barrier
	buffer_gl0_inv
	v_add_nc_u32_e32 v112, 0x2400, v106
	v_sub_nc_u32_e32 v127, v143, v2
	v_sub_nc_u32_e32 v137, v144, v3
	v_add_nc_u32_e32 v117, 0x1600, v106
	v_add_nc_u32_e32 v118, 0x2800, v106
	v_sub_nc_u32_e32 v124, v45, v121
	v_add_nc_u32_e32 v115, 0x1a00, v106
	v_add_nc_u32_e32 v116, 0x2a00, v106
	ds_read_b32 v135, v106
	ds_read_b32 v134, v107
	;; [unrolled: 1-line block ×8, first 2 shown]
	v_add_nc_u32_e32 v119, 0x1e00, v106
	ds_read_b32 v7, v136
	ds_read_b32 v5, v126
	ds_read2_b32 v[75:76], v109 offset0:56 offset1:164
	ds_read2_b32 v[73:74], v111 offset0:112 offset1:220
	ds_read2_b32 v[71:72], v110 offset0:16 offset1:124
	ds_read2_b32 v[69:70], v112 offset0:72 offset1:180
	ds_read2_b32 v[67:68], v117 offset0:104 offset1:212
	ds_read2_b32 v[65:66], v118 offset0:32 offset1:140
	ds_read2_b32 v[63:64], v115 offset0:64 offset1:172
	ds_read2_b32 v[61:62], v116 offset0:120 offset1:228
	ds_read2_b32 v[59:60], v119 offset0:24 offset1:132
	ds_read2_b32 v[2:3], v120 offset0:80 offset1:188
	s_waitcnt lgkmcnt(0)
	s_barrier
	buffer_gl0_inv
	ds_write2_b32 v140, v138, v147 offset1:1
	v_add_f32_e32 v138, v54, v58
	v_fmac_f32_e32 v50, 0x3f5db3d7, v139
	v_add_f32_e32 v139, v52, v56
	v_add_f32_e32 v58, v58, v48
	v_sub_f32_e32 v53, v57, v53
	v_fmac_f32_e32 v48, -0.5, v138
	v_add_f32_e32 v56, v56, v46
	v_sub_f32_e32 v51, v55, v51
	v_fmac_f32_e32 v46, -0.5, v139
	v_add_f32_e32 v54, v54, v58
	v_fmamk_f32 v55, v53, 0xbf5db3d7, v48
	v_fmac_f32_e32 v48, 0x3f5db3d7, v53
	v_add_f32_e32 v52, v52, v56
	v_fmamk_f32 v53, v51, 0xbf5db3d7, v46
	ds_write_b32 v140, v50 offset:8
	ds_write2_b32 v141, v54, v55 offset1:1
	ds_write_b32 v141, v48 offset:8
	ds_write2_b32 v142, v52, v53 offset1:1
	v_add_f32_e32 v48, v44, v16
	v_add_f32_e32 v44, v42, v44
	v_sub_f32_e32 v41, v43, v41
	v_add_f32_e32 v43, v40, v14
	v_add_f32_e32 v40, v38, v40
	v_sub_f32_e32 v37, v39, v37
	;; [unrolled: 3-line block ×5, first 2 shown]
	v_add_f32_e32 v25, v24, v6
	v_fmac_f32_e32 v16, -0.5, v44
	v_fmac_f32_e32 v14, -0.5, v40
	v_add_f32_e32 v24, v22, v24
	v_fmac_f32_e32 v46, 0x3f5db3d7, v51
	v_add_f32_e32 v42, v42, v48
	v_add_f32_e32 v38, v38, v43
	v_sub_f32_e32 v21, v23, v21
	v_add_f32_e32 v22, v22, v25
	v_add_f32_e32 v23, v18, v4
	v_fmamk_f32 v25, v41, 0xbf5db3d7, v16
	v_sub_f32_e32 v17, v17, v19
	v_fmamk_f32 v19, v37, 0xbf5db3d7, v14
	v_fmac_f32_e32 v12, -0.5, v36
	v_fmac_f32_e32 v10, -0.5, v32
	;; [unrolled: 1-line block ×3, first 2 shown]
	v_add_f32_e32 v18, v20, v18
	v_fmac_f32_e32 v16, 0x3f5db3d7, v41
	v_fmac_f32_e32 v6, -0.5, v24
	ds_write_b32 v142, v46 offset:8
	v_add_f32_e32 v34, v34, v39
	v_add_f32_e32 v26, v26, v31
	;; [unrolled: 1-line block ×3, first 2 shown]
	ds_write2_b32 v49, v42, v25 offset1:1
	ds_write_b32 v49, v16 offset:8
	ds_write2_b32 v47, v38, v19 offset1:1
	v_fmac_f32_e32 v14, 0x3f5db3d7, v37
	v_fmamk_f32 v16, v33, 0xbf5db3d7, v12
	v_fmac_f32_e32 v12, 0x3f5db3d7, v33
	v_fmamk_f32 v19, v29, 0xbf5db3d7, v10
	;; [unrolled: 2-line block ×3, first 2 shown]
	v_and_b32_e32 v25, 0xff, v99
	v_and_b32_e32 v29, 0xff, v102
	v_add_f32_e32 v30, v30, v35
	v_fmac_f32_e32 v8, 0x3f5db3d7, v27
	v_fmac_f32_e32 v4, -0.5, v18
	v_fmamk_f32 v18, v21, 0xbf5db3d7, v6
	ds_write_b32 v47, v14 offset:8
	v_mul_lo_u16 v14, 0xab, v25
	v_fmac_f32_e32 v6, 0x3f5db3d7, v21
	ds_write2_b32 v45, v34, v16 offset1:1
	ds_write_b32 v45, v12 offset:8
	ds_write2_b32 v143, v30, v19 offset1:1
	ds_write_b32 v143, v10 offset:8
	v_mul_lo_u16 v12, 0xab, v29
	ds_write2_b32 v144, v26, v23 offset1:1
	ds_write_b32 v144, v8 offset:8
	ds_write2_b32 v145, v22, v18 offset1:1
	v_mov_b32_e32 v23, 0xaaab
	v_fmamk_f32 v21, v17, 0xbf5db3d7, v4
	v_fmac_f32_e32 v4, 0x3f5db3d7, v17
	v_lshrrev_b16 v14, 9, v14
	v_lshrrev_b16 v8, 9, v12
	ds_write_b32 v145, v6 offset:8
	ds_write2_b32 v146, v20, v21 offset1:1
	v_mul_u32_u24_sdwa v6, v103, v23 dst_sel:DWORD dst_unused:UNUSED_PAD src0_sel:WORD_0 src1_sel:DWORD
	v_mul_u32_u24_sdwa v17, v104, v23 dst_sel:DWORD dst_unused:UNUSED_PAD src0_sel:WORD_0 src1_sel:DWORD
	v_mul_lo_u16 v10, v14, 3
	ds_write_b32 v146, v4 offset:8
	v_mul_lo_u16 v12, v8, 3
	v_lshrrev_b32_e32 v4, 17, v6
	v_mul_u32_u24_sdwa v18, v105, v23 dst_sel:DWORD dst_unused:UNUSED_PAD src0_sel:WORD_0 src1_sel:DWORD
	v_lshrrev_b32_e32 v6, 17, v17
	v_sub_nc_u16 v10, v99, v10
	v_mov_b32_e32 v24, 4
	v_mul_lo_u16 v17, v4, 3
	v_sub_nc_u16 v20, v102, v12
	v_lshrrev_b32_e32 v12, 17, v18
	v_mul_lo_u16 v18, v6, 3
	v_lshlrev_b32_sdwa v16, v24, v10 dst_sel:DWORD dst_unused:UNUSED_PAD src0_sel:DWORD src1_sel:BYTE_0
	v_sub_nc_u16 v46, v103, v17
	v_lshlrev_b32_sdwa v17, v24, v20 dst_sel:DWORD dst_unused:UNUSED_PAD src0_sel:DWORD src1_sel:BYTE_0
	s_waitcnt lgkmcnt(0)
	v_sub_nc_u16 v19, v104, v18
	s_barrier
	buffer_gl0_inv
	s_clause 0x1
	global_load_dwordx4 v[32:35], v16, s[8:9]
	global_load_dwordx4 v[37:40], v17, s[8:9]
	v_lshlrev_b32_sdwa v18, v24, v46 dst_sel:DWORD dst_unused:UNUSED_PAD src0_sel:DWORD src1_sel:WORD_0
	v_lshlrev_b32_sdwa v17, v24, v19 dst_sel:DWORD dst_unused:UNUSED_PAD src0_sel:DWORD src1_sel:WORD_0
	v_mul_lo_u16 v16, v12, 3
	v_mul_u32_u24_sdwa v27, v128, v23 dst_sel:DWORD dst_unused:UNUSED_PAD src0_sel:WORD_0 src1_sel:DWORD
	v_mul_u32_u24_e32 v4, 36, v4
	s_clause 0x1
	global_load_dwordx4 v[50:53], v18, s[8:9]
	global_load_dwordx4 v[54:57], v17, s[8:9]
	v_mul_u32_u24_sdwa v17, v131, v23 dst_sel:DWORD dst_unused:UNUSED_PAD src0_sel:WORD_0 src1_sel:DWORD
	v_sub_nc_u16 v16, v105, v16
	v_mul_u32_u24_e32 v6, 36, v6
	v_mul_lo_u16 v25, v25, 57
	v_cmp_gt_u32_e64 s0, 0x5a, v99
	v_lshrrev_b32_e32 v22, 17, v17
	v_mul_u32_u24_sdwa v17, v130, v23 dst_sel:DWORD dst_unused:UNUSED_PAD src0_sel:WORD_0 src1_sel:DWORD
	v_lshlrev_b32_sdwa v18, v24, v16 dst_sel:DWORD dst_unused:UNUSED_PAD src0_sel:DWORD src1_sel:WORD_0
	v_lshrrev_b32_e32 v17, 17, v17
	global_load_dwordx4 v[138:141], v18, s[8:9]
	v_mul_lo_u16 v21, v17, 3
	v_sub_nc_u16 v173, v130, v21
	v_lshrrev_b32_e32 v21, 17, v27
	v_lshlrev_b32_sdwa v27, v24, v173 dst_sel:DWORD dst_unused:UNUSED_PAD src0_sel:DWORD src1_sel:WORD_0
	global_load_dwordx4 v[146:149], v27, s[8:9]
	v_mul_lo_u16 v18, v22, 3
	v_sub_nc_u16 v172, v131, v18
	v_mul_u32_u24_sdwa v18, v129, v23 dst_sel:DWORD dst_unused:UNUSED_PAD src0_sel:WORD_0 src1_sel:DWORD
	v_mul_u32_u24_sdwa v23, v125, v23 dst_sel:DWORD dst_unused:UNUSED_PAD src0_sel:WORD_0 src1_sel:DWORD
	v_lshlrev_b32_sdwa v26, v24, v172 dst_sel:DWORD dst_unused:UNUSED_PAD src0_sel:DWORD src1_sel:WORD_0
	v_lshrrev_b32_e32 v18, 17, v18
	v_lshrrev_b32_e32 v23, 17, v23
	global_load_dwordx4 v[142:145], v26, s[8:9]
	v_mul_lo_u16 v26, v18, 3
	v_mul_lo_u16 v27, v23, 3
	v_sub_nc_u16 v174, v129, v26
	v_mul_lo_u16 v26, v21, 3
	v_sub_nc_u16 v176, v125, v27
	v_sub_nc_u16 v175, v128, v26
	v_lshlrev_b32_sdwa v26, v24, v174 dst_sel:DWORD dst_unused:UNUSED_PAD src0_sel:DWORD src1_sel:WORD_0
	v_lshlrev_b32_sdwa v28, v24, v175 dst_sel:DWORD dst_unused:UNUSED_PAD src0_sel:DWORD src1_sel:WORD_0
	global_load_dwordx4 v[128:131], v26, s[8:9]
	v_lshlrev_b32_sdwa v24, v24, v176 dst_sel:DWORD dst_unused:UNUSED_PAD src0_sel:DWORD src1_sel:WORD_0
	s_clause 0x1
	global_load_dwordx4 v[150:153], v28, s[8:9]
	global_load_dwordx4 v[154:157], v24, s[8:9]
	ds_read2_b32 v[42:43], v109 offset0:56 offset1:164
	ds_read2_b32 v[158:159], v111 offset0:112 offset1:220
	;; [unrolled: 1-line block ×8, first 2 shown]
	s_waitcnt vmcnt(9) lgkmcnt(7)
	v_mul_f32_e32 v24, v42, v33
	v_mul_f32_e32 v177, v75, v33
	s_waitcnt lgkmcnt(6)
	v_mul_f32_e32 v26, v158, v35
	s_waitcnt vmcnt(8)
	v_mul_f32_e32 v33, v159, v40
	v_mul_f32_e32 v41, v74, v40
	v_fma_f32 v24, v75, v32, -v24
	v_fmac_f32_e32 v177, v42, v32
	v_mul_f32_e32 v178, v73, v35
	s_waitcnt vmcnt(7) lgkmcnt(5)
	v_mul_f32_e32 v35, v160, v51
	s_waitcnt lgkmcnt(4)
	v_mul_f32_e32 v36, v162, v53
	s_waitcnt vmcnt(6)
	v_mul_f32_e32 v40, v161, v55
	v_mul_f32_e32 v30, v72, v55
	v_fma_f32 v179, v73, v34, -v26
	v_fma_f32 v74, v74, v39, -v33
	v_fmac_f32_e32 v41, v159, v39
	v_mul_f32_e32 v28, v43, v38
	v_mul_f32_e32 v125, v76, v38
	;; [unrolled: 1-line block ×3, first 2 shown]
	v_fma_f32 v71, v71, v50, -v35
	v_fma_f32 v73, v69, v52, -v36
	;; [unrolled: 1-line block ×3, first 2 shown]
	s_waitcnt vmcnt(5) lgkmcnt(2)
	v_mul_f32_e32 v32, v166, v141
	v_mul_f32_e32 v48, v164, v139
	v_mul_f32_e32 v26, v67, v139
	v_fmac_f32_e32 v30, v161, v54
	v_mul_f32_e32 v35, v65, v141
	v_fma_f32 v39, v65, v140, -v32
	v_fma_f32 v36, v67, v138, -v48
	v_fmac_f32_e32 v26, v164, v138
	ds_read2_b32 v[138:139], v119 offset0:24 offset1:132
	v_fma_f32 v75, v76, v37, -v28
	v_mul_f32_e32 v31, v69, v53
	v_fmac_f32_e32 v125, v43, v37
	v_mul_f32_e32 v44, v163, v57
	v_mul_f32_e32 v27, v70, v57
	v_fmac_f32_e32 v178, v158, v34
	v_fmac_f32_e32 v31, v162, v52
	;; [unrolled: 1-line block ×3, first 2 shown]
	v_fma_f32 v69, v70, v56, -v44
	v_fmac_f32_e32 v27, v163, v56
	s_waitcnt vmcnt(4) lgkmcnt(1)
	v_mul_f32_e32 v33, v170, v149
	v_mul_f32_e32 v40, v63, v147
	v_fmac_f32_e32 v35, v166, v140
	v_sub_f32_e32 v141, v24, v179
	v_fma_f32 v52, v61, v148, -v33
	v_fmac_f32_e32 v40, v168, v146
	s_waitcnt vmcnt(3)
	v_mul_f32_e32 v32, v167, v145
	v_mul_f32_e32 v48, v66, v145
	;; [unrolled: 1-line block ×4, first 2 shown]
	v_fma_f32 v54, v66, v144, -v32
	ds_read2_b32 v[65:66], v120 offset0:80 offset1:188
	v_fma_f32 v51, v68, v142, -v28
	v_mul_f32_e32 v28, v168, v147
	v_mul_f32_e32 v32, v61, v149
	v_fmac_f32_e32 v42, v165, v142
	v_fmac_f32_e32 v48, v167, v144
	v_add_f32_e32 v142, v125, v41
	v_fma_f32 v43, v63, v146, -v28
	v_add_f32_e32 v63, v135, v24
	v_fmac_f32_e32 v32, v170, v148
	v_add_nc_u32_e32 v170, 0x600, v106
	s_waitcnt vmcnt(2)
	v_mul_f32_e32 v28, v169, v129
	v_mul_f32_e32 v33, v171, v131
	;; [unrolled: 1-line block ×4, first 2 shown]
	s_waitcnt vmcnt(1) lgkmcnt(1)
	v_mul_f32_e32 v34, v138, v151
	v_fma_f32 v57, v64, v128, -v28
	v_fma_f32 v61, v62, v130, -v33
	v_add_f32_e32 v62, v24, v179
	s_waitcnt lgkmcnt(0)
	v_mul_f32_e32 v28, v65, v153
	v_fma_f32 v33, v59, v150, -v34
	v_mul_f32_e32 v34, v2, v153
	v_mul_f32_e32 v37, v59, v151
	s_waitcnt vmcnt(0)
	v_mul_f32_e32 v53, v139, v155
	v_fma_f32 v56, v2, v152, -v28
	v_mov_b32_e32 v2, 36
	v_mov_b32_e32 v28, 2
	v_fmac_f32_e32 v34, v65, v152
	v_mul_f32_e32 v59, v66, v157
	v_fmac_f32_e32 v135, -0.5, v62
	v_mul_u32_u24_sdwa v14, v14, v2 dst_sel:DWORD dst_unused:UNUSED_PAD src0_sel:WORD_0 src1_sel:DWORD
	v_lshlrev_b32_sdwa v10, v28, v10 dst_sel:DWORD dst_unused:UNUSED_PAD src0_sel:DWORD src1_sel:BYTE_0
	v_add_f32_e32 v65, v75, v74
	v_mul_u32_u24_sdwa v2, v8, v2 dst_sel:DWORD dst_unused:UNUSED_PAD src0_sel:WORD_0 src1_sel:DWORD
	v_lshlrev_b32_sdwa v8, v28, v20 dst_sel:DWORD dst_unused:UNUSED_PAD src0_sel:DWORD src1_sel:BYTE_0
	v_mul_f32_e32 v50, v60, v155
	v_add3_u32 v62, 0, v14, v10
	v_sub_f32_e32 v10, v177, v178
	v_fma_f32 v53, v60, v154, -v53
	v_mul_f32_e32 v60, v3, v157
	v_fma_f32 v59, v3, v156, -v59
	v_add_f32_e32 v3, v63, v179
	v_fmamk_f32 v14, v10, 0x3f5db3d7, v135
	v_fmac_f32_e32 v135, 0xbf5db3d7, v10
	v_add_f32_e32 v10, v134, v75
	v_fmac_f32_e32 v134, -0.5, v65
	v_sub_f32_e32 v20, v125, v41
	v_add3_u32 v131, 0, v2, v8
	v_add_f32_e32 v8, v71, v73
	v_fmac_f32_e32 v55, v169, v128
	v_fmac_f32_e32 v44, v171, v130
	ds_read_b32 v63, v106
	ds_read_b32 v64, v107
	;; [unrolled: 1-line block ×10, first 2 shown]
	s_waitcnt lgkmcnt(0)
	s_barrier
	buffer_gl0_inv
	ds_write2_b32 v62, v3, v14 offset1:3
	ds_write_b32 v62, v135 offset:24
	v_add_f32_e32 v2, v10, v74
	v_fmamk_f32 v3, v20, 0x3f5db3d7, v134
	v_lshlrev_b32_sdwa v14, v28, v46 dst_sel:DWORD dst_unused:UNUSED_PAD src0_sel:DWORD src1_sel:WORD_0
	v_fmac_f32_e32 v134, 0xbf5db3d7, v20
	v_add_f32_e32 v10, v133, v71
	v_fmac_f32_e32 v133, -0.5, v8
	v_sub_f32_e32 v8, v38, v31
	ds_write2_b32 v131, v2, v3 offset1:3
	ds_write_b32 v131, v134 offset:24
	v_add3_u32 v134, 0, v4, v14
	v_add_f32_e32 v4, v58, v69
	v_add_f32_e32 v2, v10, v73
	v_fmamk_f32 v3, v8, 0x3f5db3d7, v133
	v_lshlrev_b32_sdwa v10, v28, v19 dst_sel:DWORD dst_unused:UNUSED_PAD src0_sel:DWORD src1_sel:WORD_0
	v_fmac_f32_e32 v133, 0xbf5db3d7, v8
	v_add_f32_e32 v8, v132, v58
	v_fmac_f32_e32 v132, -0.5, v4
	v_sub_f32_e32 v4, v30, v27
	ds_write2_b32 v134, v2, v3 offset1:3
	ds_write_b32 v134, v133 offset:24
	v_add3_u32 v133, 0, v6, v10
	v_add_f32_e32 v6, v36, v39
	v_add_f32_e32 v2, v8, v69
	v_fmamk_f32 v3, v4, 0x3f5db3d7, v132
	v_fmac_f32_e32 v132, 0xbf5db3d7, v4
	v_add_f32_e32 v4, v15, v36
	v_mul_u32_u24_e32 v8, 36, v12
	v_lshlrev_b32_sdwa v10, v28, v16 dst_sel:DWORD dst_unused:UNUSED_PAD src0_sel:DWORD src1_sel:WORD_0
	v_fmac_f32_e32 v15, -0.5, v6
	v_sub_f32_e32 v6, v26, v35
	ds_write2_b32 v133, v2, v3 offset1:3
	ds_write_b32 v133, v132 offset:24
	v_add_f32_e32 v2, v4, v39
	v_add_f32_e32 v4, v51, v54
	v_add3_u32 v132, 0, v8, v10
	v_fmamk_f32 v3, v6, 0x3f5db3d7, v15
	v_fmac_f32_e32 v15, 0xbf5db3d7, v6
	v_mul_u32_u24_e32 v6, 36, v22
	v_lshlrev_b32_sdwa v8, v28, v172 dst_sel:DWORD dst_unused:UNUSED_PAD src0_sel:DWORD src1_sel:WORD_0
	v_add_f32_e32 v10, v13, v51
	v_fmac_f32_e32 v13, -0.5, v4
	v_add_f32_e32 v4, v43, v52
	ds_write2_b32 v132, v2, v3 offset1:3
	v_add3_u32 v135, 0, v6, v8
	v_mul_u32_u24_e32 v6, 36, v17
	v_lshlrev_b32_sdwa v8, v28, v173 dst_sel:DWORD dst_unused:UNUSED_PAD src0_sel:DWORD src1_sel:WORD_0
	v_add_f32_e32 v2, v10, v54
	v_sub_f32_e32 v3, v42, v48
	v_add_f32_e32 v10, v11, v43
	v_fmac_f32_e32 v11, -0.5, v4
	v_add_f32_e32 v4, v57, v61
	v_add3_u32 v136, 0, v6, v8
	v_sub_f32_e32 v6, v40, v32
	v_fmamk_f32 v12, v3, 0x3f5db3d7, v13
	v_fmac_f32_e32 v13, 0xbf5db3d7, v3
	v_add_f32_e32 v3, v10, v52
	v_add_f32_e32 v8, v9, v57
	v_mul_u32_u24_e32 v10, 36, v18
	v_lshlrev_b32_sdwa v14, v28, v174 dst_sel:DWORD dst_unused:UNUSED_PAD src0_sel:DWORD src1_sel:WORD_0
	v_fmac_f32_e32 v9, -0.5, v4
	v_sub_f32_e32 v4, v55, v44
	ds_write_b32 v132, v15 offset:24
	v_fmamk_f32 v15, v6, 0x3f5db3d7, v11
	v_fmac_f32_e32 v11, 0xbf5db3d7, v6
	v_add3_u32 v137, 0, v10, v14
	v_add_f32_e32 v6, v8, v61
	v_fmamk_f32 v8, v4, 0x3f5db3d7, v9
	v_fmac_f32_e32 v37, v138, v150
	ds_write2_b32 v135, v2, v12 offset1:3
	ds_write_b32 v135, v13 offset:24
	ds_write2_b32 v136, v3, v15 offset1:3
	ds_write_b32 v136, v11 offset:24
	ds_write2_b32 v137, v6, v8 offset1:3
	v_add_f32_e32 v2, v33, v56
	v_fmac_f32_e32 v9, 0xbf5db3d7, v4
	v_mul_u32_u24_e32 v3, 36, v21
	v_lshlrev_b32_sdwa v4, v28, v175 dst_sel:DWORD dst_unused:UNUSED_PAD src0_sel:DWORD src1_sel:WORD_0
	v_add_f32_e32 v6, v7, v33
	v_fmac_f32_e32 v7, -0.5, v2
	v_sub_f32_e32 v2, v37, v34
	v_add_f32_e32 v8, v5, v53
	v_fmac_f32_e32 v50, v139, v154
	v_fmac_f32_e32 v60, v66, v156
	v_add3_u32 v138, 0, v3, v4
	v_add_f32_e32 v3, v6, v56
	v_add_f32_e32 v4, v53, v59
	v_fmamk_f32 v6, v2, 0x3f5db3d7, v7
	v_fmac_f32_e32 v7, 0xbf5db3d7, v2
	v_add_f32_e32 v2, v8, v59
	v_add_f32_e32 v8, v177, v178
	ds_write_b32 v137, v9 offset:24
	v_mul_u32_u24_e32 v9, 36, v23
	v_lshlrev_b32_sdwa v10, v28, v176 dst_sel:DWORD dst_unused:UNUSED_PAD src0_sel:DWORD src1_sel:WORD_0
	v_fmac_f32_e32 v5, -0.5, v4
	v_sub_f32_e32 v4, v50, v60
	ds_write2_b32 v138, v3, v6 offset1:3
	v_add_f32_e32 v6, v63, v177
	v_fmac_f32_e32 v63, -0.5, v8
	v_add3_u32 v139, 0, v9, v10
	v_fmamk_f32 v3, v4, 0x3f5db3d7, v5
	v_fmac_f32_e32 v5, 0xbf5db3d7, v4
	v_add_f32_e32 v140, v6, v178
	v_fmamk_f32 v143, v141, 0xbf5db3d7, v63
	v_fmac_f32_e32 v63, 0x3f5db3d7, v141
	v_add_f32_e32 v125, v64, v125
	v_fmac_f32_e32 v64, -0.5, v142
	v_sub_f32_e32 v74, v75, v74
	ds_write_b32 v138, v7 offset:24
	ds_write2_b32 v139, v2, v3 offset1:3
	ds_write_b32 v139, v5 offset:24
	s_waitcnt lgkmcnt(0)
	s_barrier
	buffer_gl0_inv
	ds_read_b32 v46, v126
	ds_read_b32 v24, v106
	;; [unrolled: 1-line block ×3, first 2 shown]
	v_add_nc_u32_e32 v171, 0xa00, v106
	ds_read_b32 v172, v127
	ds_read_b32 v173, v122
	;; [unrolled: 1-line block ×3, first 2 shown]
	ds_read2_b32 v[18:19], v110 offset0:16 offset1:124
	ds_read2_b32 v[16:17], v117 offset0:104 offset1:212
	;; [unrolled: 1-line block ×12, first 2 shown]
	s_waitcnt lgkmcnt(0)
	s_barrier
	buffer_gl0_inv
	ds_write2_b32 v62, v140, v143 offset1:3
	ds_write_b32 v62, v63 offset:24
	v_add_f32_e32 v62, v38, v31
	v_add_f32_e32 v41, v125, v41
	v_fmamk_f32 v63, v74, 0xbf5db3d7, v64
	v_fmac_f32_e32 v64, 0x3f5db3d7, v74
	v_add_f32_e32 v38, v67, v38
	v_fmac_f32_e32 v67, -0.5, v62
	v_sub_f32_e32 v62, v71, v73
	ds_write2_b32 v131, v41, v63 offset1:3
	ds_write_b32 v131, v64 offset:24
	v_add_f32_e32 v41, v30, v27
	v_add_f32_e32 v30, v68, v30
	v_add_f32_e32 v31, v38, v31
	v_fmamk_f32 v38, v62, 0xbf5db3d7, v67
	v_fmac_f32_e32 v67, 0x3f5db3d7, v62
	v_fmac_f32_e32 v68, -0.5, v41
	v_add_f32_e32 v27, v30, v27
	v_add_f32_e32 v30, v26, v35
	v_sub_f32_e32 v41, v58, v69
	ds_write2_b32 v134, v31, v38 offset1:3
	ds_write_b32 v134, v67 offset:24
	v_add_f32_e32 v38, v42, v48
	v_add_f32_e32 v26, v70, v26
	v_fmac_f32_e32 v70, -0.5, v30
	v_sub_f32_e32 v30, v36, v39
	v_fmamk_f32 v31, v41, 0xbf5db3d7, v68
	v_add_f32_e32 v36, v72, v42
	v_fmac_f32_e32 v72, -0.5, v38
	v_sub_f32_e32 v38, v51, v54
	v_fmac_f32_e32 v68, 0x3f5db3d7, v41
	v_add_f32_e32 v26, v26, v35
	v_fmamk_f32 v35, v30, 0xbf5db3d7, v70
	v_fmac_f32_e32 v70, 0x3f5db3d7, v30
	v_add_f32_e32 v30, v36, v48
	v_add_f32_e32 v36, v40, v32
	v_fmamk_f32 v39, v38, 0xbf5db3d7, v72
	v_fmac_f32_e32 v72, 0x3f5db3d7, v38
	v_add_f32_e32 v38, v55, v44
	ds_write2_b32 v133, v27, v31 offset1:3
	ds_write_b32 v133, v68 offset:24
	ds_write2_b32 v132, v26, v35 offset1:3
	ds_write_b32 v132, v70 offset:24
	v_lshrrev_b16 v67, 9, v25
	v_mul_lo_u16 v26, v29, 57
	v_add_f32_e32 v40, v128, v40
	v_fmac_f32_e32 v128, -0.5, v36
	v_sub_f32_e32 v36, v43, v52
	v_add_f32_e32 v41, v76, v55
	v_fmac_f32_e32 v76, -0.5, v38
	v_sub_f32_e32 v38, v57, v61
	v_mul_lo_u16 v25, v67, 9
	v_mov_b32_e32 v27, 0xe38f
	v_lshrrev_b16 v31, 9, v26
	v_add_f32_e32 v32, v40, v32
	v_fmamk_f32 v40, v36, 0xbf5db3d7, v128
	v_fmac_f32_e32 v128, 0x3f5db3d7, v36
	v_add_f32_e32 v36, v41, v44
	v_add_f32_e32 v41, v37, v34
	v_fmamk_f32 v42, v38, 0xbf5db3d7, v76
	v_fmac_f32_e32 v76, 0x3f5db3d7, v38
	v_add_f32_e32 v38, v50, v60
	v_sub_nc_u16 v71, v99, v25
	v_mul_u32_u24_sdwa v25, v103, v27 dst_sel:DWORD dst_unused:UNUSED_PAD src0_sel:WORD_0 src1_sel:DWORD
	v_mov_b32_e32 v27, 9
	v_mul_lo_u16 v26, v31, 9
	v_add_f32_e32 v37, v129, v37
	v_fmac_f32_e32 v129, -0.5, v41
	v_sub_f32_e32 v33, v33, v56
	v_add_f32_e32 v41, v130, v50
	v_fmac_f32_e32 v130, -0.5, v38
	v_sub_f32_e32 v38, v53, v59
	ds_write2_b32 v135, v30, v39 offset1:3
	ds_write_b32 v135, v72 offset:24
	ds_write2_b32 v136, v32, v40 offset1:3
	ds_write_b32 v136, v128 offset:24
	v_mul_u32_u24_sdwa v30, v71, v27 dst_sel:DWORD dst_unused:UNUSED_PAD src0_sel:BYTE_0 src1_sel:DWORD
	v_sub_nc_u16 v53, v102, v26
	v_add_f32_e32 v34, v37, v34
	v_fmamk_f32 v37, v33, 0xbf5db3d7, v129
	v_fmac_f32_e32 v129, 0x3f5db3d7, v33
	v_add_f32_e32 v33, v41, v60
	v_fmamk_f32 v41, v38, 0xbf5db3d7, v130
	v_fmac_f32_e32 v130, 0x3f5db3d7, v38
	v_lshlrev_b32_e32 v30, 3, v30
	v_mul_u32_u24_sdwa v32, v53, v27 dst_sel:DWORD dst_unused:UNUSED_PAD src0_sel:BYTE_0 src1_sel:DWORD
	v_lshrrev_b32_e32 v25, 19, v25
	ds_write2_b32 v137, v36, v42 offset1:3
	ds_write_b32 v137, v76 offset:24
	ds_write2_b32 v138, v34, v37 offset1:3
	ds_write_b32 v138, v129 offset:24
	;; [unrolled: 2-line block ×3, first 2 shown]
	s_waitcnt lgkmcnt(0)
	s_barrier
	buffer_gl0_inv
	global_load_dwordx4 v[33:36], v30, s[8:9] offset:48
	v_lshlrev_b32_e32 v32, 3, v32
	v_mul_lo_u16 v26, v25, 9
	v_lshlrev_b32_sdwa v71, v28, v71 dst_sel:DWORD dst_unused:UNUSED_PAD src0_sel:DWORD src1_sel:BYTE_0
	v_mul_lo_u16 v29, 0xb7, v29
	global_load_dwordx4 v[39:42], v32, s[8:9] offset:48
	v_sub_nc_u16 v26, v103, v26
	v_mul_u32_u24_sdwa v27, v26, v27 dst_sel:DWORD dst_unused:UNUSED_PAD src0_sel:WORD_0 src1_sel:DWORD
	v_lshlrev_b32_e32 v27, 3, v27
	s_clause 0xc
	global_load_dwordx4 v[61:64], v27, s[8:9] offset:48
	global_load_dwordx4 v[128:131], v30, s[8:9] offset:64
	;; [unrolled: 1-line block ×10, first 2 shown]
	global_load_dwordx2 v[75:76], v30, s[8:9] offset:112
	global_load_dwordx2 v[166:167], v32, s[8:9] offset:112
	;; [unrolled: 1-line block ×3, first 2 shown]
	ds_read_b32 v27, v122
	ds_read_b32 v30, v127
	ds_read2_b32 v[50:51], v170 offset0:48 offset1:156
	ds_read2_b32 v[57:58], v171 offset0:116 offset1:224
	ds_read_b32 v44, v126
	ds_read_b32 v32, v108
	ds_read2_b32 v[68:69], v110 offset0:16 offset1:124
	ds_read2_b32 v[125:126], v117 offset0:104 offset1:212
	;; [unrolled: 1-line block ×3, first 2 shown]
	s_waitcnt vmcnt(14)
	v_mul_f32_e32 v60, v172, v36
	s_waitcnt lgkmcnt(8)
	v_mul_f32_e32 v37, v27, v34
	v_mul_f32_e32 v56, v173, v34
	s_waitcnt lgkmcnt(7)
	v_mul_f32_e32 v34, v30, v36
	v_fmac_f32_e32 v60, v30, v35
	s_waitcnt vmcnt(13) lgkmcnt(6)
	v_mul_f32_e32 v30, v50, v40
	v_fma_f32 v54, v173, v33, -v37
	v_fmac_f32_e32 v56, v27, v33
	v_mul_f32_e32 v38, v65, v40
	s_waitcnt lgkmcnt(5)
	v_mul_f32_e32 v33, v57, v42
	v_fma_f32 v37, v65, v39, -v30
	s_waitcnt vmcnt(12)
	v_mul_f32_e32 v30, v51, v62
	v_mul_f32_e32 v43, v164, v42
	v_fmac_f32_e32 v38, v50, v39
	v_fma_f32 v50, v164, v41, -v33
	ds_read2_b32 v[39:40], v109 offset0:56 offset1:164
	v_fma_f32 v33, v66, v61, -v30
	v_mul_f32_e32 v30, v58, v64
	v_fma_f32 v27, v172, v35, -v34
	v_fmac_f32_e32 v43, v57, v41
	v_mul_f32_e32 v35, v165, v64
	s_waitcnt vmcnt(11) lgkmcnt(5)
	v_mul_f32_e32 v41, v44, v129
	v_fma_f32 v36, v165, v63, -v30
	s_waitcnt lgkmcnt(3)
	v_mul_f32_e32 v30, v68, v131
	v_mul_f32_e32 v34, v66, v62
	v_fmac_f32_e32 v35, v58, v63
	v_fma_f32 v73, v46, v128, -v41
	v_mul_f32_e32 v65, v18, v131
	v_fma_f32 v18, v18, v130, -v30
	s_waitcnt vmcnt(10) lgkmcnt(2)
	v_mul_f32_e32 v41, v126, v133
	v_mul_f32_e32 v30, v17, v133
	s_waitcnt vmcnt(9)
	v_mul_f32_e32 v52, v19, v139
	ds_read2_b32 v[62:63], v115 offset0:64 offset1:172
	v_mul_f32_e32 v72, v46, v129
	s_waitcnt lgkmcnt(2)
	v_mul_f32_e32 v42, v170, v135
	v_fmac_f32_e32 v65, v68, v130
	v_fma_f32 v74, v17, v132, -v41
	v_fmac_f32_e32 v30, v126, v132
	v_mul_f32_e32 v17, v69, v139
	v_fmac_f32_e32 v52, v69, v138
	ds_read2_b32 v[68:69], v111 offset0:112 offset1:220
	ds_read2_b32 v[126:127], v118 offset0:32 offset1:140
	v_fmac_f32_e32 v72, v44, v128
	v_mul_f32_e32 v66, v14, v135
	v_fma_f32 v14, v14, v134, -v42
	s_waitcnt vmcnt(8) lgkmcnt(3)
	v_mul_f32_e32 v42, v40, v141
	ds_read2_b32 v[128:129], v112 offset0:72 offset1:180
	v_mul_f32_e32 v41, v39, v137
	v_mul_f32_e32 v70, v20, v137
	v_fma_f32 v57, v19, v138, -v17
	v_fma_f32 v19, v21, v140, -v42
	v_mul_f32_e32 v17, v21, v141
	v_mul_f32_e32 v21, v125, v143
	s_waitcnt vmcnt(7)
	v_mul_f32_e32 v42, v171, v147
	ds_read2_b32 v[130:131], v116 offset0:120 offset1:228
	v_fmac_f32_e32 v34, v51, v61
	v_fma_f32 v20, v20, v136, -v41
	v_fmac_f32_e32 v70, v39, v136
	v_mul_f32_e32 v39, v16, v143
	v_mul_f32_e32 v58, v15, v147
	v_fma_f32 v41, v16, v142, -v21
	v_fma_f32 v61, v15, v146, -v42
	s_waitcnt lgkmcnt(4)
	v_mul_f32_e32 v15, v62, v145
	s_waitcnt vmcnt(6)
	v_mul_f32_e32 v16, v63, v149
	v_fmac_f32_e32 v17, v40, v140
	v_mul_f32_e32 v59, v12, v145
	v_mul_f32_e32 v40, v13, v149
	v_fma_f32 v15, v12, v144, -v15
	v_fma_f32 v13, v13, v148, -v16
	s_waitcnt lgkmcnt(3)
	v_mul_f32_e32 v16, v68, v151
	s_waitcnt vmcnt(5)
	v_mul_f32_e32 v12, v11, v153
	s_waitcnt lgkmcnt(2)
	v_mul_f32_e32 v44, v126, v155
	v_mul_f32_e32 v42, v10, v151
	;; [unrolled: 1-line block ×3, first 2 shown]
	v_fma_f32 v46, v10, v150, -v16
	v_fmac_f32_e32 v12, v69, v152
	v_fma_f32 v10, v8, v154, -v44
	v_mul_f32_e32 v69, v8, v155
	s_waitcnt vmcnt(4)
	v_mul_f32_e32 v8, v127, v159
	s_waitcnt lgkmcnt(1)
	v_mul_f32_e32 v16, v128, v157
	v_fmac_f32_e32 v59, v62, v144
	v_fmac_f32_e32 v42, v68, v150
	v_mul_f32_e32 v64, v9, v159
	v_mul_f32_e32 v62, v6, v157
	v_fma_f32 v68, v9, v158, -v8
	v_fma_f32 v8, v6, v156, -v16
	s_waitcnt vmcnt(3)
	v_mul_f32_e32 v6, v129, v161
	s_waitcnt lgkmcnt(0)
	v_mul_f32_e32 v9, v130, v163
	s_waitcnt vmcnt(2)
	v_mul_f32_e32 v16, v131, v76
	v_fma_f32 v11, v11, v152, -v21
	ds_read2_b32 v[132:133], v120 offset0:80 offset1:188
	v_mul_f32_e32 v44, v7, v161
	v_mul_f32_e32 v51, v4, v163
	v_fma_f32 v6, v7, v160, -v6
	v_fma_f32 v55, v4, v162, -v9
	;; [unrolled: 1-line block ×3, first 2 shown]
	v_mul_f32_e32 v4, v5, v76
	v_sub_f32_e32 v21, v73, v74
	v_fmac_f32_e32 v39, v125, v142
	v_sub_f32_e32 v76, v72, v30
	v_fmac_f32_e32 v64, v127, v158
	v_fmac_f32_e32 v4, v131, v75
	v_sub_f32_e32 v75, v7, v11
	v_mov_b32_e32 v16, 0x168
	v_fmac_f32_e32 v40, v63, v148
	s_waitcnt vmcnt(1)
	v_mul_f32_e32 v63, v2, v167
	v_sub_f32_e32 v125, v4, v12
	v_add_f32_e32 v21, v21, v75
	v_add_f32_e32 v75, v30, v12
	s_waitcnt vmcnt(0)
	v_mul_f32_e32 v48, v3, v169
	s_waitcnt lgkmcnt(0)
	v_mul_f32_e32 v5, v132, v167
	v_add_f32_e32 v127, v76, v125
	v_mul_f32_e32 v9, v133, v169
	v_fma_f32 v125, -0.5, v75, v56
	v_add_f32_e32 v75, v54, v73
	v_fma_f32 v5, v2, v166, -v5
	v_mul_u32_u24_sdwa v67, v67, v16 dst_sel:DWORD dst_unused:UNUSED_PAD src0_sel:WORD_0 src1_sel:DWORD
	v_fma_f32 v2, v3, v168, -v9
	v_sub_f32_e32 v3, v27, v18
	v_add_f32_e32 v75, v75, v74
	v_sub_f32_e32 v9, v10, v14
	v_add_f32_e32 v76, v74, v11
	v_fmac_f32_e32 v62, v128, v156
	v_sub_f32_e32 v128, v73, v7
	v_add_f32_e32 v75, v75, v11
	v_add_f32_e32 v9, v3, v9
	v_add3_u32 v3, 0, v67, v71
	v_add_f32_e32 v71, v18, v14
	v_sub_f32_e32 v131, v74, v11
	v_add_f32_e32 v138, v75, v7
	v_add_f32_e32 v139, v27, v10
	;; [unrolled: 1-line block ×3, first 2 shown]
	v_sub_f32_e32 v7, v11, v7
	v_add_f32_e32 v11, v72, v4
	v_fmac_f32_e32 v44, v129, v160
	v_fma_f32 v76, -0.5, v76, v54
	v_sub_f32_e32 v129, v72, v4
	v_fmac_f32_e32 v66, v170, v134
	v_add_f32_e32 v67, v24, v27
	v_fma_f32 v71, -0.5, v71, v24
	v_sub_f32_e32 v134, v30, v12
	v_fmac_f32_e32 v24, -0.5, v139
	v_sub_f32_e32 v139, v18, v27
	v_sub_f32_e32 v140, v14, v10
	v_fmac_f32_e32 v54, -0.5, v142
	v_sub_f32_e32 v73, v74, v73
	v_add_f32_e32 v74, v56, v72
	v_fmac_f32_e32 v56, -0.5, v11
	v_fmac_f32_e32 v69, v126, v154
	v_fmac_f32_e32 v51, v130, v162
	;; [unrolled: 1-line block ×3, first 2 shown]
	v_fmamk_f32 v130, v128, 0xbf737871, v125
	v_fmamk_f32 v133, v129, 0x3f737871, v76
	v_fmac_f32_e32 v76, 0xbf737871, v129
	v_add_f32_e32 v139, v139, v140
	v_fmamk_f32 v140, v134, 0xbf737871, v54
	v_fmac_f32_e32 v54, 0x3f737871, v134
	v_sub_f32_e32 v11, v30, v72
	v_sub_f32_e32 v72, v12, v4
	v_fmamk_f32 v142, v131, 0x3f737871, v56
	v_fmac_f32_e32 v63, v132, v166
	v_sub_f32_e32 v132, v60, v69
	v_fmac_f32_e32 v130, 0xbf167918, v131
	v_fmac_f32_e32 v125, 0x3f737871, v128
	;; [unrolled: 1-line block ×3, first 2 shown]
	v_sub_f32_e32 v136, v65, v66
	v_add_f32_e32 v7, v73, v7
	v_fmac_f32_e32 v54, 0xbf167918, v129
	v_fmac_f32_e32 v56, 0xbf737871, v131
	v_add_f32_e32 v11, v11, v72
	v_fmac_f32_e32 v142, 0xbf167918, v128
	v_add_f32_e32 v67, v67, v18
	v_fmamk_f32 v135, v132, 0x3f737871, v71
	v_fmac_f32_e32 v133, 0x3f167918, v134
	v_fmac_f32_e32 v130, 0x3e9e377a, v127
	;; [unrolled: 1-line block ×5, first 2 shown]
	v_fmamk_f32 v141, v136, 0xbf737871, v24
	v_fmac_f32_e32 v24, 0x3f737871, v136
	v_fmac_f32_e32 v140, 0x3f167918, v129
	;; [unrolled: 1-line block ×5, first 2 shown]
	v_add_f32_e32 v67, v67, v14
	v_fmac_f32_e32 v135, 0x3f167918, v136
	v_fmac_f32_e32 v133, 0x3e9e377a, v21
	v_mul_f32_e32 v137, 0x3f167918, v130
	v_fmac_f32_e32 v71, 0xbf167918, v136
	v_fmac_f32_e32 v125, 0x3e9e377a, v127
	v_mul_f32_e32 v21, 0x3f4f1bbd, v76
	v_fmac_f32_e32 v141, 0x3f167918, v132
	v_fmac_f32_e32 v24, 0xbf167918, v132
	;; [unrolled: 1-line block ×4, first 2 shown]
	v_mul_f32_e32 v7, 0x3f737871, v142
	v_mul_f32_e32 v11, 0x3e9e377a, v54
	v_add_f32_e32 v67, v67, v10
	v_fmac_f32_e32 v135, 0x3e9e377a, v9
	v_fmac_f32_e32 v137, 0x3f4f1bbd, v133
	;; [unrolled: 1-line block ×3, first 2 shown]
	v_fma_f32 v9, 0x3f167918, v125, -v21
	v_fmac_f32_e32 v141, 0x3e9e377a, v139
	v_fmac_f32_e32 v24, 0x3e9e377a, v139
	v_fmac_f32_e32 v7, 0x3e9e377a, v140
	v_fma_f32 v11, 0x3f737871, v56, -v11
	v_add_f32_e32 v143, v67, v138
	v_add_f32_e32 v21, v135, v137
	;; [unrolled: 1-line block ×3, first 2 shown]
	v_sub_f32_e32 v9, v71, v9
	v_add_f32_e32 v71, v37, v20
	v_add_f32_e32 v72, v141, v7
	;; [unrolled: 1-line block ×3, first 2 shown]
	v_sub_f32_e32 v67, v67, v138
	v_sub_f32_e32 v128, v135, v137
	;; [unrolled: 1-line block ×4, first 2 shown]
	ds_read_b32 v126, v106
	ds_read_b32 v75, v107
	s_waitcnt lgkmcnt(0)
	s_barrier
	buffer_gl0_inv
	ds_write2_b32 v3, v143, v21 offset1:9
	ds_write2_b32 v3, v72, v73 offset0:18 offset1:27
	ds_write2_b32 v3, v127, v67 offset0:36 offset1:45
	;; [unrolled: 1-line block ×4, first 2 shown]
	v_sub_f32_e32 v7, v50, v57
	v_sub_f32_e32 v9, v68, v61
	v_add_f32_e32 v71, v71, v15
	v_sub_f32_e32 v11, v20, v15
	v_sub_f32_e32 v21, v5, v8
	;; [unrolled: 1-line block ×4, first 2 shown]
	v_add_f32_e32 v7, v7, v9
	v_mul_u32_u24_sdwa v9, v31, v16 dst_sel:DWORD dst_unused:UNUSED_PAD src0_sel:WORD_0 src1_sel:DWORD
	v_lshlrev_b32_sdwa v16, v28, v53 dst_sel:DWORD dst_unused:UNUSED_PAD src0_sel:DWORD src1_sel:BYTE_0
	v_add_f32_e32 v31, v59, v62
	v_add_f32_e32 v71, v71, v8
	;; [unrolled: 1-line block ×4, first 2 shown]
	v_add3_u32 v73, 0, v9, v16
	v_add_f32_e32 v9, v57, v61
	v_add_f32_e32 v16, v15, v8
	v_fma_f32 v128, -0.5, v31, v38
	v_sub_f32_e32 v31, v20, v5
	v_sub_f32_e32 v67, v15, v8
	v_add_f32_e32 v135, v50, v68
	v_add_f32_e32 v71, v71, v5
	;; [unrolled: 1-line block ×3, first 2 shown]
	v_sub_f32_e32 v5, v8, v5
	v_add_f32_e32 v8, v70, v63
	v_add_f32_e32 v24, v23, v50
	v_fma_f32 v9, -0.5, v9, v23
	v_fma_f32 v129, -0.5, v16, v37
	v_sub_f32_e32 v16, v70, v63
	v_sub_f32_e32 v72, v59, v62
	v_fmac_f32_e32 v23, -0.5, v135
	v_sub_f32_e32 v135, v57, v50
	v_sub_f32_e32 v137, v61, v68
	v_fmac_f32_e32 v37, -0.5, v141
	v_sub_f32_e32 v15, v15, v20
	v_add_f32_e32 v141, v38, v70
	v_fmac_f32_e32 v38, -0.5, v8
	v_fmac_f32_e32 v58, v171, v146
	v_fmamk_f32 v131, v31, 0xbf737871, v128
	v_fmamk_f32 v132, v16, 0x3f737871, v129
	v_add_f32_e32 v135, v135, v137
	v_fmamk_f32 v137, v72, 0xbf737871, v37
	v_add_f32_e32 v5, v15, v5
	v_fmac_f32_e32 v37, 0x3f737871, v72
	v_sub_f32_e32 v8, v59, v70
	v_sub_f32_e32 v15, v62, v63
	v_fmamk_f32 v144, v67, 0x3f737871, v38
	v_fmac_f32_e32 v129, 0xbf737871, v16
	v_sub_f32_e32 v53, v43, v64
	v_fmac_f32_e32 v131, 0xbf167918, v67
	v_sub_f32_e32 v134, v52, v58
	v_fmac_f32_e32 v37, 0xbf167918, v16
	v_fmac_f32_e32 v38, 0xbf737871, v67
	v_add_f32_e32 v8, v8, v15
	v_fmac_f32_e32 v144, 0xbf167918, v31
	v_fmac_f32_e32 v128, 0x3f737871, v31
	;; [unrolled: 1-line block ×3, first 2 shown]
	v_add_f32_e32 v24, v24, v57
	v_fmamk_f32 v127, v53, 0x3f737871, v9
	v_fmac_f32_e32 v132, 0x3f167918, v72
	v_fmac_f32_e32 v131, 0x3e9e377a, v21
	v_fmamk_f32 v139, v134, 0xbf737871, v23
	v_fmac_f32_e32 v23, 0x3f737871, v134
	v_fmac_f32_e32 v137, 0x3f167918, v16
	;; [unrolled: 1-line block ×8, first 2 shown]
	v_add_f32_e32 v24, v24, v61
	v_fmac_f32_e32 v127, 0x3f167918, v134
	v_fmac_f32_e32 v132, 0x3e9e377a, v11
	v_mul_f32_e32 v136, 0x3f167918, v131
	v_fmac_f32_e32 v139, 0x3f167918, v53
	v_fmac_f32_e32 v23, 0xbf167918, v53
	;; [unrolled: 1-line block ×4, first 2 shown]
	v_mul_f32_e32 v5, 0x3f737871, v144
	v_mul_f32_e32 v8, 0x3e9e377a, v37
	v_fmac_f32_e32 v9, 0xbf167918, v134
	v_fmac_f32_e32 v128, 0x3e9e377a, v21
	v_mul_f32_e32 v11, 0x3f4f1bbd, v129
	v_add_f32_e32 v24, v24, v68
	v_fmac_f32_e32 v127, 0x3e9e377a, v7
	v_fmac_f32_e32 v136, 0x3f4f1bbd, v132
	;; [unrolled: 1-line block ×5, first 2 shown]
	v_fma_f32 v8, 0x3f737871, v38, -v8
	v_fmac_f32_e32 v9, 0x3e9e377a, v7
	v_fma_f32 v7, 0x3f167918, v128, -v11
	v_add_f32_e32 v138, v24, v71
	v_add_f32_e32 v143, v127, v136
	;; [unrolled: 1-line block ×4, first 2 shown]
	v_sub_f32_e32 v16, v24, v71
	v_add_f32_e32 v20, v9, v7
	v_sub_f32_e32 v21, v127, v136
	v_sub_f32_e32 v5, v139, v5
	ds_write2_b32 v73, v138, v143 offset1:9
	ds_write2_b32 v73, v11, v15 offset0:18 offset1:27
	ds_write2_b32 v73, v20, v16 offset0:36 offset1:45
	;; [unrolled: 1-line block ×3, first 2 shown]
	v_mul_u32_u24_e32 v20, 0x168, v25
	v_lshlrev_b32_sdwa v21, v28, v26 dst_sel:DWORD dst_unused:UNUSED_PAD src0_sel:DWORD src1_sel:WORD_0
	v_sub_f32_e32 v11, v36, v41
	v_sub_f32_e32 v15, v55, v46
	;; [unrolled: 1-line block ×3, first 2 shown]
	v_add_f32_e32 v23, v13, v6
	v_add3_u32 v127, 0, v20, v21
	v_add_f32_e32 v21, v33, v19
	v_add_f32_e32 v20, v40, v44
	v_add_f32_e32 v8, v11, v15
	v_sub_f32_e32 v11, v2, v6
	v_sub_f32_e32 v25, v13, v6
	v_add_f32_e32 v21, v21, v13
	v_fma_f32 v134, -0.5, v20, v34
	v_sub_f32_e32 v20, v19, v2
	v_add_f32_e32 v139, v19, v2
	v_sub_f32_e32 v15, v17, v40
	v_add_f32_e32 v21, v21, v6
	v_sub_f32_e32 v16, v48, v44
	v_sub_f32_e32 v7, v9, v7
	v_sub_f32_e32 v9, v19, v13
	v_fma_f32 v135, -0.5, v23, v33
	v_add_f32_e32 v21, v21, v2
	v_sub_f32_e32 v2, v6, v2
	v_add_f32_e32 v6, v17, v48
	v_sub_f32_e32 v53, v40, v44
	v_fmac_f32_e32 v33, -0.5, v139
	v_sub_f32_e32 v13, v13, v19
	v_add_f32_e32 v145, v34, v17
	v_fmac_f32_e32 v34, -0.5, v6
	v_sub_f32_e32 v23, v17, v48
	v_add_f32_e32 v15, v15, v16
	v_add_f32_e32 v16, v41, v46
	v_fmamk_f32 v136, v20, 0xbf737871, v134
	v_add_f32_e32 v67, v36, v55
	v_fmamk_f32 v139, v53, 0xbf737871, v33
	v_add_f32_e32 v2, v13, v2
	v_fmac_f32_e32 v33, 0x3f737871, v53
	v_sub_f32_e32 v6, v40, v17
	v_sub_f32_e32 v13, v44, v48
	v_fmamk_f32 v146, v25, 0x3f737871, v34
	v_fmamk_f32 v138, v23, 0x3f737871, v135
	v_fmac_f32_e32 v135, 0xbf737871, v23
	v_add_f32_e32 v9, v9, v11
	v_add_f32_e32 v11, v22, v36
	v_fma_f32 v16, -0.5, v16, v22
	v_sub_f32_e32 v24, v35, v51
	v_fmac_f32_e32 v136, 0xbf167918, v25
	v_sub_f32_e32 v31, v39, v42
	v_fmac_f32_e32 v22, -0.5, v67
	v_fmac_f32_e32 v33, 0xbf167918, v23
	v_fmac_f32_e32 v34, 0xbf737871, v25
	v_add_f32_e32 v6, v6, v13
	v_fmac_f32_e32 v146, 0xbf167918, v20
	v_fmac_f32_e32 v134, 0x3f737871, v20
	;; [unrolled: 1-line block ×3, first 2 shown]
	v_add_f32_e32 v11, v11, v41
	v_fmamk_f32 v26, v24, 0x3f737871, v16
	v_fmac_f32_e32 v138, 0x3f167918, v53
	v_fmac_f32_e32 v136, 0x3e9e377a, v15
	v_sub_f32_e32 v67, v41, v36
	v_sub_f32_e32 v71, v46, v55
	v_fmamk_f32 v72, v31, 0xbf737871, v22
	v_fmac_f32_e32 v22, 0x3f737871, v31
	v_fmac_f32_e32 v139, 0x3f167918, v23
	;; [unrolled: 1-line block ×8, first 2 shown]
	v_add_f32_e32 v11, v11, v46
	v_fmac_f32_e32 v26, 0x3f167918, v31
	v_fmac_f32_e32 v138, 0x3e9e377a, v9
	v_mul_f32_e32 v70, 0x3f167918, v136
	v_add_f32_e32 v67, v67, v71
	v_fmac_f32_e32 v72, 0x3f167918, v24
	v_fmac_f32_e32 v22, 0xbf167918, v24
	;; [unrolled: 1-line block ×4, first 2 shown]
	v_mul_f32_e32 v2, 0x3f737871, v146
	v_mul_f32_e32 v6, 0x3e9e377a, v33
	v_fmac_f32_e32 v16, 0xbf167918, v31
	v_fmac_f32_e32 v134, 0x3e9e377a, v15
	v_mul_f32_e32 v9, 0x3f4f1bbd, v135
	v_add_f32_e32 v11, v11, v55
	v_fmac_f32_e32 v26, 0x3e9e377a, v8
	v_fmac_f32_e32 v70, 0x3f4f1bbd, v138
	;; [unrolled: 1-line block ×5, first 2 shown]
	v_fma_f32 v6, 0x3f737871, v34, -v6
	v_fmac_f32_e32 v16, 0x3e9e377a, v8
	v_fma_f32 v8, 0x3f167918, v134, -v9
	v_add_f32_e32 v143, v11, v21
	v_add_f32_e32 v9, v26, v70
	;; [unrolled: 1-line block ×4, first 2 shown]
	v_sub_f32_e32 v11, v11, v21
	v_add_f32_e32 v17, v16, v8
	v_sub_f32_e32 v19, v26, v70
	v_sub_f32_e32 v2, v72, v2
	ds_write2_b32 v73, v5, v7 offset0:72 offset1:81
	ds_write2_b32 v127, v143, v9 offset1:9
	ds_write2_b32 v127, v13, v15 offset0:18 offset1:27
	ds_write2_b32 v127, v17, v11 offset0:36 offset1:45
	;; [unrolled: 1-line block ×3, first 2 shown]
	v_add_f32_e32 v7, v74, v30
	v_sub_f32_e32 v2, v22, v6
	v_sub_f32_e32 v6, v16, v8
	v_add_f32_e32 v5, v65, v66
	v_add_f32_e32 v8, v126, v60
	;; [unrolled: 1-line block ×3, first 2 shown]
	v_sub_f32_e32 v143, v27, v10
	ds_write2_b32 v127, v2, v6 offset0:72 offset1:81
	v_fma_f32 v147, -0.5, v5, v126
	v_sub_f32_e32 v5, v60, v65
	v_add_f32_e32 v2, v7, v4
	v_add_f32_e32 v4, v60, v69
	v_sub_f32_e32 v9, v69, v66
	v_sub_f32_e32 v148, v18, v14
	v_add_f32_e32 v8, v8, v65
	v_fmamk_f32 v149, v143, 0xbf737871, v147
	v_fmac_f32_e32 v126, -0.5, v4
	v_add_f32_e32 v150, v5, v9
	v_sub_f32_e32 v60, v65, v60
	v_add_f32_e32 v5, v8, v66
	v_sub_f32_e32 v65, v66, v69
	v_fmamk_f32 v66, v148, 0x3f737871, v126
	v_fmac_f32_e32 v126, 0xbf737871, v148
	v_mul_f32_e32 v133, 0xbf167918, v133
	v_fmac_f32_e32 v149, 0xbf167918, v148
	v_add_f32_e32 v60, v60, v65
	v_fmac_f32_e32 v66, 0xbf167918, v143
	v_mul_f32_e32 v65, 0xbf737871, v140
	v_fmac_f32_e32 v126, 0x3f167918, v143
	v_mul_f32_e32 v56, 0x3e9e377a, v56
	v_fmac_f32_e32 v133, 0x3f4f1bbd, v130
	v_add_f32_e32 v130, v5, v69
	v_fmac_f32_e32 v149, 0x3e9e377a, v150
	v_fmac_f32_e32 v66, 0x3e9e377a, v60
	;; [unrolled: 1-line block ×4, first 2 shown]
	v_fma_f32 v54, 0xbf737871, v54, -v56
	v_add_nc_u32_e32 v31, 0xc00, v106
	v_add_f32_e32 v56, v130, v2
	v_add_f32_e32 v60, v149, v133
	;; [unrolled: 1-line block ×3, first 2 shown]
	v_mul_f32_e32 v125, 0x3f4f1bbd, v125
	v_sub_f32_e32 v65, v66, v65
	v_add_f32_e32 v66, v75, v43
	v_add_f32_e32 v140, v126, v54
	s_waitcnt lgkmcnt(0)
	s_barrier
	buffer_gl0_inv
	v_add_nc_u32_e32 v30, 0x800, v106
	ds_read_b32 v72, v106
	ds_read_b32 v71, v107
	;; [unrolled: 1-line block ×6, first 2 shown]
	ds_read2_b32 v[24:25], v109 offset0:56 offset1:164
	ds_read2_b32 v[16:17], v117 offset0:104 offset1:212
	ds_read2_b32 v[12:13], v111 offset0:112 offset1:220
	ds_read2_b32 v[6:7], v118 offset0:32 offset1:140
	ds_read2_b32 v[20:21], v30 offset0:136 offset1:244
	ds_read2_b32 v[18:19], v115 offset0:64 offset1:172
	ds_read2_b32 v[8:9], v116 offset0:120 offset1:228
	ds_read2_b32 v[26:27], v110 offset0:16 offset1:124
	ds_read2_b32 v[14:15], v112 offset0:72 offset1:180
	ds_read2_b32 v[22:23], v31 offset0:96 offset1:204
	ds_read2_b32 v[10:11], v119 offset0:24 offset1:132
	ds_read2_b32 v[4:5], v120 offset0:80 offset1:188
	s_waitcnt lgkmcnt(0)
	s_barrier
	buffer_gl0_inv
	ds_write2_b32 v3, v56, v60 offset1:9
	ds_write2_b32 v3, v69, v140 offset0:18 offset1:27
	v_fma_f32 v56, 0xbf167918, v76, -v125
	v_sub_f32_e32 v50, v50, v68
	v_sub_f32_e32 v68, v43, v52
	v_add_f32_e32 v66, v66, v52
	v_sub_f32_e32 v76, v64, v58
	v_add_f32_e32 v125, v52, v58
	;; [unrolled: 2-line block ×4, first 2 shown]
	v_add_f32_e32 v66, v68, v76
	v_fma_f32 v68, -0.5, v125, v75
	v_fmac_f32_e32 v75, -0.5, v126
	v_sub_f32_e32 v43, v52, v43
	v_add_f32_e32 v52, v61, v64
	v_sub_f32_e32 v58, v58, v64
	v_fmamk_f32 v61, v50, 0xbf737871, v68
	v_fmac_f32_e32 v68, 0x3f737871, v50
	v_add_f32_e32 v59, v141, v59
	v_fmamk_f32 v64, v57, 0x3f737871, v75
	v_fmac_f32_e32 v75, 0xbf737871, v57
	v_add_f32_e32 v43, v43, v58
	v_fmac_f32_e32 v68, 0x3f167918, v57
	v_mul_f32_e32 v38, 0x3e9e377a, v38
	v_mul_f32_e32 v58, 0x3f4f1bbd, v128
	v_fmac_f32_e32 v61, 0xbf167918, v57
	v_fmac_f32_e32 v64, 0xbf167918, v50
	;; [unrolled: 1-line block ×3, first 2 shown]
	v_add_f32_e32 v50, v59, v62
	v_fmac_f32_e32 v68, 0x3e9e377a, v66
	v_fma_f32 v37, 0xbf737871, v37, -v38
	v_fma_f32 v38, 0xbf167918, v129, -v58
	v_add_f32_e32 v62, v32, v35
	v_fmac_f32_e32 v61, 0x3e9e377a, v66
	v_mul_f32_e32 v57, 0xbf737871, v137
	v_add_f32_e32 v50, v50, v63
	v_add_f32_e32 v63, v68, v38
	v_sub_f32_e32 v38, v68, v38
	v_add_f32_e32 v62, v62, v39
	v_add_f32_e32 v66, v39, v42
	;; [unrolled: 1-line block ×3, first 2 shown]
	v_fmac_f32_e32 v64, 0x3e9e377a, v43
	v_fmac_f32_e32 v57, 0x3e9e377a, v144
	v_sub_f32_e32 v41, v41, v46
	v_add_f32_e32 v46, v62, v42
	v_fma_f32 v62, -0.5, v66, v32
	v_fmac_f32_e32 v32, -0.5, v68
	v_fmac_f32_e32 v147, 0x3f737871, v143
	v_add_f32_e32 v59, v64, v57
	v_sub_f32_e32 v57, v64, v57
	v_sub_f32_e32 v36, v36, v55
	;; [unrolled: 1-line block ×5, first 2 shown]
	v_add_f32_e32 v39, v46, v51
	v_sub_f32_e32 v42, v42, v51
	v_add_f32_e32 v40, v145, v40
	v_fmamk_f32 v51, v41, 0x3f737871, v32
	v_fmac_f32_e32 v32, 0xbf737871, v41
	v_fmac_f32_e32 v147, 0x3f167918, v148
	v_fmamk_f32 v46, v36, 0xbf737871, v62
	v_fmac_f32_e32 v62, 0x3f737871, v36
	v_fmac_f32_e32 v51, 0xbf167918, v36
	;; [unrolled: 1-line block ×3, first 2 shown]
	v_add_f32_e32 v36, v40, v44
	v_fmac_f32_e32 v75, 0x3e9e377a, v43
	v_mul_f32_e32 v43, 0xbf167918, v132
	v_add_f32_e32 v35, v35, v42
	v_fmac_f32_e32 v147, 0x3e9e377a, v150
	v_add_f32_e32 v55, v55, v64
	v_fmac_f32_e32 v46, 0xbf167918, v41
	v_fmac_f32_e32 v62, 0x3f167918, v41
	v_add_f32_e32 v36, v36, v48
	v_add_nc_u32_e32 v48, 0xffffffa6, v99
	v_fmac_f32_e32 v43, 0x3f4f1bbd, v131
	v_fmac_f32_e32 v51, 0x3e9e377a, v35
	;; [unrolled: 1-line block ×3, first 2 shown]
	v_mul_f32_e32 v35, 0xbf167918, v138
	v_mul_f32_e32 v40, 0xbf737871, v139
	;; [unrolled: 1-line block ×3, first 2 shown]
	v_sub_f32_e32 v2, v130, v2
	v_add_f32_e32 v69, v147, v56
	v_sub_f32_e32 v56, v147, v56
	v_fmac_f32_e32 v46, 0x3e9e377a, v55
	v_fmac_f32_e32 v62, 0x3e9e377a, v55
	v_mul_f32_e32 v41, 0x3f4f1bbd, v134
	v_cndmask_b32_e64 v55, v48, v99, s0
	v_sub_f32_e32 v60, v149, v133
	v_add_f32_e32 v58, v52, v50
	v_sub_f32_e32 v50, v52, v50
	v_add_f32_e32 v52, v61, v43
	;; [unrolled: 2-line block ×3, first 2 shown]
	v_fmac_f32_e32 v35, 0x3f4f1bbd, v136
	v_fmac_f32_e32 v40, 0x3e9e377a, v146
	v_fma_f32 v33, 0xbf737871, v33, -v34
	v_fma_f32 v41, 0xbf167918, v135, -v41
	ds_write2_b32 v3, v69, v2 offset0:36 offset1:45
	ds_write2_b32 v3, v60, v65 offset0:54 offset1:63
	;; [unrolled: 1-line block ×3, first 2 shown]
	ds_write2_b32 v73, v58, v52 offset1:9
	ds_write2_b32 v73, v59, v61 offset0:18 offset1:27
	ds_write2_b32 v73, v63, v50 offset0:36 offset1:45
	v_mul_i32_i24_e32 v2, 5, v55
	v_mov_b32_e32 v3, 0
	v_sub_f32_e32 v37, v75, v37
	v_add_f32_e32 v34, v39, v36
	v_add_f32_e32 v42, v46, v35
	v_sub_f32_e32 v36, v39, v36
	v_add_f32_e32 v39, v51, v40
	v_sub_f32_e32 v44, v46, v35
	v_add_f32_e32 v35, v32, v33
	v_add_f32_e32 v46, v62, v41
	v_sub_f32_e32 v32, v32, v33
	ds_write2_b32 v73, v43, v57 offset0:54 offset1:63
	ds_write2_b32 v73, v37, v38 offset0:72 offset1:81
	ds_write2_b32 v127, v34, v42 offset1:9
	ds_write2_b32 v127, v39, v35 offset0:18 offset1:27
	v_lshrrev_b16 v33, 14, v29
	v_lshlrev_b64 v[34:35], 3, v[2:3]
	v_mov_b32_e32 v2, 0x2d83
	v_sub_f32_e32 v40, v51, v40
	v_sub_f32_e32 v41, v62, v41
	ds_write2_b32 v127, v46, v36 offset0:36 offset1:45
	ds_write2_b32 v127, v44, v40 offset0:54 offset1:63
	;; [unrolled: 1-line block ×3, first 2 shown]
	v_mul_lo_u16 v29, 0x5a, v33
	v_mul_u32_u24_sdwa v32, v103, v2 dst_sel:DWORD dst_unused:UNUSED_PAD src0_sel:WORD_0 src1_sel:DWORD
	v_add_co_u32 v38, s0, s8, v34
	v_add_co_ci_u32_e64 v39, s0, s9, v35, s0
	v_sub_nc_u16 v65, v102, v29
	v_lshrrev_b32_e32 v32, 20, v32
	v_mul_u32_u24_sdwa v29, v104, v2 dst_sel:DWORD dst_unused:UNUSED_PAD src0_sel:WORD_0 src1_sel:DWORD
	v_mov_b32_e32 v40, 5
	s_waitcnt lgkmcnt(0)
	s_barrier
	buffer_gl0_inv
	v_mul_lo_u16 v42, 0x5a, v32
	global_load_dwordx4 v[34:37], v[38:39], off offset:696
	v_lshrrev_b32_e32 v41, 20, v29
	v_mul_u32_u24_sdwa v43, v65, v40 dst_sel:DWORD dst_unused:UNUSED_PAD src0_sel:BYTE_0 src1_sel:DWORD
	v_mul_u32_u24_sdwa v2, v105, v2 dst_sel:DWORD dst_unused:UNUSED_PAD src0_sel:WORD_0 src1_sel:DWORD
	v_sub_nc_u16 v69, v103, v42
	v_cmp_lt_u32_e64 s0, 0x59, v99
	v_mul_lo_u16 v29, 0x5a, v41
	v_lshlrev_b32_e32 v42, 3, v43
	v_lshlrev_b32_sdwa v65, v28, v65 dst_sel:DWORD dst_unused:UNUSED_PAD src0_sel:DWORD src1_sel:BYTE_0
	v_mul_u32_u24_sdwa v43, v69, v40 dst_sel:DWORD dst_unused:UNUSED_PAD src0_sel:WORD_0 src1_sel:DWORD
	v_sub_nc_u16 v64, v104, v29
	global_load_dwordx4 v[126:129], v42, s[8:9] offset:696
	v_lshrrev_b32_e32 v29, 20, v2
	v_lshlrev_b32_e32 v2, 3, v43
	v_mul_u32_u24_sdwa v43, v64, v40 dst_sel:DWORD dst_unused:UNUSED_PAD src0_sel:WORD_0 src1_sel:DWORD
	v_mul_lo_u16 v44, 0x5a, v29
	global_load_dwordx4 v[130:133], v2, s[8:9] offset:696
	v_lshlrev_b32_e32 v43, 3, v43
	v_sub_nc_u16 v48, v105, v44
	global_load_dwordx4 v[134:137], v43, s[8:9] offset:696
	v_mul_u32_u24_sdwa v40, v48, v40 dst_sel:DWORD dst_unused:UNUSED_PAD src0_sel:WORD_0 src1_sel:DWORD
	v_lshlrev_b32_e32 v40, 3, v40
	s_clause 0xa
	global_load_dwordx4 v[138:141], v40, s[8:9] offset:696
	global_load_dwordx4 v[142:145], v[38:39], off offset:712
	global_load_dwordx4 v[146:149], v42, s[8:9] offset:712
	global_load_dwordx4 v[150:153], v2, s[8:9] offset:712
	;; [unrolled: 1-line block ×4, first 2 shown]
	global_load_dwordx2 v[162:163], v[38:39], off offset:728
	global_load_dwordx2 v[164:165], v42, s[8:9] offset:728
	global_load_dwordx2 v[166:167], v2, s[8:9] offset:728
	;; [unrolled: 1-line block ×4, first 2 shown]
	ds_read_b32 v40, v124
	ds_read2_b32 v[38:39], v109 offset0:56 offset1:164
	ds_read2_b32 v[42:43], v30 offset0:136 offset1:244
	ds_read_b32 v2, v123
	ds_read2_b32 v[60:61], v110 offset0:16 offset1:124
	ds_read2_b32 v[75:76], v117 offset0:104 offset1:212
	s_waitcnt vmcnt(14) lgkmcnt(5)
	v_mul_f32_e32 v44, v40, v35
	v_mul_f32_e32 v62, v74, v35
	s_waitcnt lgkmcnt(4)
	v_mul_f32_e32 v35, v38, v37
	v_mul_f32_e32 v125, v24, v37
	v_fma_f32 v56, v74, v34, -v44
	ds_read2_b32 v[73:74], v31 offset0:96 offset1:204
	v_fmac_f32_e32 v62, v40, v34
	v_fma_f32 v24, v24, v36, -v35
	v_fmac_f32_e32 v125, v38, v36
	s_waitcnt vmcnt(13)
	v_mul_f32_e32 v34, v39, v129
	s_waitcnt lgkmcnt(4)
	v_mul_f32_e32 v35, v42, v127
	v_mul_f32_e32 v59, v25, v129
	;; [unrolled: 1-line block ×3, first 2 shown]
	v_fma_f32 v58, v25, v128, -v34
	v_fma_f32 v46, v20, v126, -v35
	s_waitcnt vmcnt(12)
	v_mul_f32_e32 v20, v43, v131
	s_waitcnt lgkmcnt(2)
	v_mul_f32_e32 v25, v60, v133
	v_mul_f32_e32 v44, v21, v131
	;; [unrolled: 1-line block ×3, first 2 shown]
	v_fmac_f32_e32 v50, v42, v126
	v_fma_f32 v40, v21, v130, -v20
	v_fma_f32 v51, v26, v132, -v25
	s_waitcnt vmcnt(11)
	v_mul_f32_e32 v25, v61, v137
	s_waitcnt lgkmcnt(0)
	v_mul_f32_e32 v26, v73, v135
	ds_read2_b32 v[20:21], v111 offset0:112 offset1:220
	v_fmac_f32_e32 v44, v43, v130
	v_mul_f32_e32 v38, v22, v135
	v_fma_f32 v43, v27, v136, -v25
	v_fma_f32 v36, v22, v134, -v26
	s_waitcnt vmcnt(10)
	v_mul_f32_e32 v22, v74, v139
	ds_read2_b32 v[25:26], v115 offset0:64 offset1:172
	v_mul_f32_e32 v42, v27, v137
	v_mul_f32_e32 v35, v23, v139
	;; [unrolled: 1-line block ×3, first 2 shown]
	v_fma_f32 v34, v23, v138, -v22
	ds_read2_b32 v[22:23], v112 offset0:72 offset1:180
	v_fmac_f32_e32 v59, v39, v128
	v_mul_f32_e32 v37, v16, v141
	s_waitcnt vmcnt(9)
	v_mul_f32_e32 v54, v76, v143
	v_fmac_f32_e32 v35, v74, v138
	v_fma_f32 v39, v16, v140, -v27
	v_mul_f32_e32 v16, v12, v145
	s_waitcnt vmcnt(8)
	v_mul_f32_e32 v74, v13, v149
	v_fma_f32 v27, v17, v142, -v54
	v_mul_f32_e32 v128, v17, v143
	s_waitcnt lgkmcnt(2)
	v_mul_f32_e32 v17, v20, v145
	v_mul_f32_e32 v54, v21, v149
	ds_read2_b32 v[126:127], v119 offset0:24 offset1:132
	v_fmac_f32_e32 v16, v20, v144
	v_fmac_f32_e32 v74, v21, v148
	ds_read2_b32 v[20:21], v118 offset0:32 offset1:140
	v_fmac_f32_e32 v52, v60, v132
	v_fmac_f32_e32 v37, v75, v140
	v_fma_f32 v12, v12, v144, -v17
	v_fma_f32 v75, v13, v148, -v54
	s_waitcnt lgkmcnt(3)
	v_mul_f32_e32 v13, v25, v147
	v_mul_f32_e32 v129, v18, v147
	s_waitcnt vmcnt(7)
	v_mul_f32_e32 v17, v26, v151
	v_mul_f32_e32 v66, v14, v153
	s_waitcnt vmcnt(6)
	v_mul_f32_e32 v60, v15, v157
	v_mul_f32_e32 v130, v19, v151
	v_fma_f32 v131, v18, v146, -v13
	v_fmac_f32_e32 v129, v25, v146
	v_fma_f32 v19, v19, v150, -v17
	s_waitcnt lgkmcnt(2)
	v_mul_f32_e32 v13, v22, v153
	v_mul_f32_e32 v25, v23, v157
	ds_read2_b32 v[17:18], v116 offset0:120 offset1:228
	v_fmac_f32_e32 v66, v22, v152
	v_fmac_f32_e32 v60, v23, v156
	ds_read2_b32 v[22:23], v120 offset0:80 offset1:188
	v_fmac_f32_e32 v38, v73, v134
	v_fmac_f32_e32 v130, v26, v150
	s_waitcnt lgkmcnt(3)
	v_mul_f32_e32 v26, v126, v155
	v_fma_f32 v73, v14, v152, -v13
	v_fma_f32 v63, v15, v156, -v25
	v_mul_f32_e32 v13, v10, v155
	s_waitcnt vmcnt(5)
	v_mul_f32_e32 v15, v127, v159
	s_waitcnt lgkmcnt(2)
	v_mul_f32_e32 v25, v20, v161
	v_fma_f32 v14, v10, v154, -v26
	v_mul_f32_e32 v10, v11, v159
	v_fmac_f32_e32 v13, v126, v154
	v_mul_f32_e32 v54, v6, v161
	v_fma_f32 v11, v11, v158, -v15
	v_fma_f32 v57, v6, v160, -v25
	s_waitcnt vmcnt(4)
	v_mul_f32_e32 v15, v21, v163
	v_mul_f32_e32 v6, v7, v163
	s_waitcnt vmcnt(3)
	v_mul_f32_e32 v126, v8, v165
	v_fmac_f32_e32 v128, v76, v142
	v_fmac_f32_e32 v54, v20, v160
	s_waitcnt lgkmcnt(1)
	v_mul_f32_e32 v20, v17, v165
	v_fma_f32 v15, v7, v162, -v15
	s_waitcnt vmcnt(2)
	v_mul_f32_e32 v7, v18, v167
	v_fmac_f32_e32 v6, v21, v162
	v_fmac_f32_e32 v126, v17, v164
	v_mul_f32_e32 v76, v9, v167
	s_waitcnt vmcnt(0) lgkmcnt(0)
	v_mul_f32_e32 v17, v23, v171
	v_fmac_f32_e32 v42, v61, v136
	v_fma_f32 v9, v9, v166, -v7
	v_mul_f32_e32 v7, v22, v169
	v_fmac_f32_e32 v76, v18, v166
	v_mul_f32_e32 v61, v5, v171
	v_add_f32_e32 v18, v128, v6
	v_fma_f32 v5, v5, v170, -v17
	v_add_f32_e32 v17, v27, v15
	v_mul_f32_e32 v68, v4, v169
	v_fma_f32 v7, v4, v168, -v7
	v_add_f32_e32 v4, v62, v128
	v_fmac_f32_e32 v62, -0.5, v18
	v_sub_f32_e32 v18, v27, v15
	v_add_f32_e32 v21, v56, v27
	v_fmac_f32_e32 v56, -0.5, v17
	v_sub_f32_e32 v17, v128, v6
	v_fma_f32 v8, v8, v164, -v20
	v_fmac_f32_e32 v68, v22, v168
	v_add_f32_e32 v20, v24, v12
	v_fmamk_f32 v22, v18, 0xbf5db3d7, v62
	v_fmamk_f32 v27, v17, 0x3f5db3d7, v56
	v_fmac_f32_e32 v56, 0xbf5db3d7, v17
	v_fmac_f32_e32 v61, v23, v170
	v_add_f32_e32 v23, v72, v24
	v_lshlrev_b32_e32 v25, 2, v55
	v_mul_f32_e32 v55, 0x3f5db3d7, v22
	v_fmac_f32_e32 v72, -0.5, v20
	v_add_f32_e32 v15, v21, v15
	v_sub_f32_e32 v21, v125, v16
	v_fmac_f32_e32 v62, 0x3f5db3d7, v18
	v_mul_f32_e32 v18, -0.5, v56
	v_cndmask_b32_e64 v26, 0, 0x870, s0
	v_add_f32_e32 v20, v23, v12
	v_fmac_f32_e32 v55, 0.5, v27
	v_fmamk_f32 v17, v21, 0x3f5db3d7, v72
	v_fmac_f32_e32 v72, 0xbf5db3d7, v21
	v_fmac_f32_e32 v18, 0x3f5db3d7, v62
	v_add_f32_e32 v21, v129, v126
	v_fmac_f32_e32 v10, v127, v158
	v_add3_u32 v127, 0, v26, v25
	v_add_f32_e32 v23, v20, v15
	v_add_f32_e32 v25, v17, v55
	v_sub_f32_e32 v15, v20, v15
	v_add_f32_e32 v20, v72, v18
	v_sub_f32_e32 v18, v72, v18
	v_add_f32_e32 v26, v131, v8
	v_add_f32_e32 v72, v50, v129
	v_fmac_f32_e32 v50, -0.5, v21
	v_sub_f32_e32 v21, v131, v8
	ds_read_b32 v128, v106
	ds_read_b32 v132, v107
	;; [unrolled: 1-line block ×4, first 2 shown]
	s_waitcnt lgkmcnt(0)
	s_barrier
	buffer_gl0_inv
	ds_write2_b32 v127, v23, v25 offset1:90
	v_add_f32_e32 v23, v58, v75
	v_add_f32_e32 v131, v46, v131
	v_fmac_f32_e32 v46, -0.5, v26
	v_mov_b32_e32 v26, 0x870
	v_sub_f32_e32 v129, v129, v126
	v_fmamk_f32 v136, v21, 0xbf5db3d7, v50
	v_add_f32_e32 v25, v71, v58
	v_fmac_f32_e32 v71, -0.5, v23
	v_add_f32_e32 v8, v131, v8
	v_mul_u32_u24_sdwa v23, v33, v26 dst_sel:DWORD dst_unused:UNUSED_PAD src0_sel:WORD_0 src1_sel:DWORD
	v_fmamk_f32 v131, v129, 0x3f5db3d7, v46
	v_mul_f32_e32 v26, 0x3f5db3d7, v136
	v_sub_f32_e32 v33, v59, v74
	v_fmac_f32_e32 v46, 0xbf5db3d7, v129
	v_add_f32_e32 v25, v25, v75
	v_add_nc_u32_e32 v135, 0x200, v127
	v_fmac_f32_e32 v26, 0.5, v131
	v_fmamk_f32 v129, v33, 0x3f5db3d7, v71
	v_sub_f32_e32 v17, v17, v55
	v_add_nc_u32_e32 v55, 0x400, v127
	v_add3_u32 v65, 0, v23, v65
	v_add_f32_e32 v23, v25, v8
	v_add_f32_e32 v137, v129, v26
	v_fmac_f32_e32 v50, 0x3f5db3d7, v21
	v_mul_f32_e32 v21, -0.5, v46
	ds_write2_b32 v135, v20, v15 offset0:52 offset1:142
	ds_write2_b32 v55, v17, v18 offset0:104 offset1:194
	ds_write2_b32 v65, v23, v137 offset1:90
	v_add_f32_e32 v20, v130, v76
	v_fmac_f32_e32 v71, 0xbf5db3d7, v33
	v_sub_f32_e32 v17, v129, v26
	v_fmac_f32_e32 v21, 0x3f5db3d7, v50
	v_add_f32_e32 v23, v19, v9
	v_add_f32_e32 v129, v44, v130
	v_fmac_f32_e32 v44, -0.5, v20
	v_sub_f32_e32 v20, v19, v9
	v_add_f32_e32 v15, v71, v21
	v_sub_f32_e32 v18, v71, v21
	v_add_f32_e32 v21, v51, v73
	v_add_f32_e32 v19, v40, v19
	v_fmac_f32_e32 v40, -0.5, v23
	v_sub_f32_e32 v23, v130, v76
	v_fmamk_f32 v130, v20, 0xbf5db3d7, v44
	v_sub_f32_e32 v8, v25, v8
	v_add_f32_e32 v25, v70, v51
	v_fmac_f32_e32 v70, -0.5, v21
	v_fmamk_f32 v138, v23, 0x3f5db3d7, v40
	v_mul_f32_e32 v21, 0x3f5db3d7, v130
	v_sub_f32_e32 v26, v52, v66
	v_add_f32_e32 v9, v19, v9
	v_mul_u32_u24_e32 v19, 0x870, v32
	v_lshlrev_b32_sdwa v32, v28, v69 dst_sel:DWORD dst_unused:UNUSED_PAD src0_sel:DWORD src1_sel:WORD_0
	v_fmac_f32_e32 v40, 0xbf5db3d7, v23
	v_add_f32_e32 v23, v25, v73
	v_fmac_f32_e32 v21, 0.5, v138
	v_fmamk_f32 v25, v26, 0x3f5db3d7, v70
	v_add_nc_u32_e32 v137, 0x200, v65
	v_add_nc_u32_e32 v71, 0x400, v65
	v_add3_u32 v69, 0, v19, v32
	v_add_f32_e32 v19, v23, v9
	v_add_f32_e32 v32, v25, v21
	ds_write2_b32 v137, v15, v8 offset0:52 offset1:142
	ds_write2_b32 v71, v17, v18 offset0:104 offset1:194
	ds_write2_b32 v69, v19, v32 offset1:90
	v_add_f32_e32 v19, v13, v68
	v_sub_f32_e32 v15, v25, v21
	v_add_f32_e32 v21, v14, v7
	v_fmac_f32_e32 v44, 0x3f5db3d7, v20
	v_mul_f32_e32 v20, -0.5, v40
	v_sub_f32_e32 v8, v23, v9
	v_add_f32_e32 v23, v36, v14
	v_add_f32_e32 v140, v38, v13
	v_fmac_f32_e32 v38, -0.5, v19
	v_sub_f32_e32 v14, v14, v7
	v_fmac_f32_e32 v36, -0.5, v21
	v_sub_f32_e32 v13, v13, v68
	v_fmac_f32_e32 v70, 0xbf5db3d7, v26
	v_fmac_f32_e32 v20, 0x3f5db3d7, v44
	v_add_f32_e32 v18, v43, v63
	v_fmamk_f32 v141, v14, 0xbf5db3d7, v38
	v_fmamk_f32 v142, v13, 0x3f5db3d7, v36
	v_fmac_f32_e32 v36, 0xbf5db3d7, v13
	v_add_f32_e32 v9, v70, v20
	v_sub_f32_e32 v17, v70, v20
	v_add_f32_e32 v20, v67, v43
	v_fmac_f32_e32 v67, -0.5, v18
	v_mul_f32_e32 v19, 0x3f5db3d7, v141
	v_sub_f32_e32 v21, v42, v60
	v_mul_u32_u24_e32 v18, 0x870, v41
	v_lshlrev_b32_sdwa v13, v28, v64 dst_sel:DWORD dst_unused:UNUSED_PAD src0_sel:DWORD src1_sel:WORD_0
	v_fmac_f32_e32 v38, 0x3f5db3d7, v14
	v_mul_f32_e32 v14, -0.5, v36
	v_add_f32_e32 v7, v23, v7
	v_add_f32_e32 v20, v20, v63
	v_fmac_f32_e32 v19, 0.5, v142
	v_fmamk_f32 v23, v21, 0x3f5db3d7, v67
	v_fmac_f32_e32 v67, 0xbf5db3d7, v21
	v_fmac_f32_e32 v14, 0x3f5db3d7, v38
	v_add3_u32 v64, 0, v18, v13
	v_add_nc_u32_e32 v139, 0x200, v69
	v_add_nc_u32_e32 v70, 0x400, v69
	v_add_f32_e32 v13, v20, v7
	v_add_f32_e32 v18, v23, v19
	v_sub_f32_e32 v7, v20, v7
	v_add_f32_e32 v20, v67, v14
	v_add_nc_u32_e32 v143, 0x200, v64
	v_sub_f32_e32 v19, v23, v19
	v_sub_f32_e32 v14, v67, v14
	v_add_nc_u32_e32 v67, 0x400, v64
	ds_write2_b32 v139, v9, v8 offset0:52 offset1:142
	ds_write2_b32 v70, v15, v17 offset0:104 offset1:194
	ds_write2_b32 v64, v13, v18 offset1:90
	ds_write2_b32 v143, v20, v7 offset0:52 offset1:142
	ds_write2_b32 v67, v19, v14 offset0:104 offset1:194
	v_add_f32_e32 v8, v10, v61
	v_add_f32_e32 v13, v11, v5
	;; [unrolled: 1-line block ×5, first 2 shown]
	v_fmac_f32_e32 v35, -0.5, v8
	v_sub_f32_e32 v8, v11, v5
	v_fmac_f32_e32 v34, -0.5, v13
	v_sub_f32_e32 v10, v10, v61
	v_add_f32_e32 v9, v53, v39
	v_fmac_f32_e32 v53, -0.5, v7
	v_fmamk_f32 v145, v8, 0xbf5db3d7, v35
	v_sub_f32_e32 v13, v37, v54
	v_fmamk_f32 v146, v10, 0x3f5db3d7, v34
	v_fmac_f32_e32 v34, 0xbf5db3d7, v10
	v_add_f32_e32 v5, v14, v5
	v_mul_f32_e32 v11, 0x3f5db3d7, v145
	v_lshlrev_b32_sdwa v7, v28, v48 dst_sel:DWORD dst_unused:UNUSED_PAD src0_sel:DWORD src1_sel:WORD_0
	v_mul_u32_u24_e32 v10, 0x870, v29
	v_fmac_f32_e32 v35, 0x3f5db3d7, v8
	v_mul_f32_e32 v8, -0.5, v34
	v_add_f32_e32 v9, v9, v57
	v_fmac_f32_e32 v11, 0.5, v146
	v_fmamk_f32 v14, v13, 0x3f5db3d7, v53
	v_fmac_f32_e32 v53, 0xbf5db3d7, v13
	v_fmac_f32_e32 v8, 0x3f5db3d7, v35
	v_add3_u32 v147, 0, v10, v7
	v_add_f32_e32 v7, v9, v5
	v_add_f32_e32 v10, v14, v11
	v_sub_f32_e32 v5, v9, v5
	v_add_f32_e32 v9, v53, v8
	v_add_nc_u32_e32 v148, 0x200, v147
	v_sub_f32_e32 v11, v14, v11
	ds_write2_b32 v147, v7, v10 offset1:90
	v_add_f32_e32 v7, v128, v125
	v_add_f32_e32 v10, v125, v16
	v_mul_f32_e32 v125, 0xbf5db3d7, v27
	v_sub_f32_e32 v8, v53, v8
	v_add_nc_u32_e32 v53, 0x400, v147
	ds_write2_b32 v148, v9, v5 offset0:52 offset1:142
	ds_write2_b32 v53, v11, v8 offset0:104 offset1:194
	v_add_f32_e32 v149, v7, v16
	v_fmac_f32_e32 v128, -0.5, v10
	v_sub_f32_e32 v150, v24, v12
	v_add_f32_e32 v151, v4, v6
	v_fmac_f32_e32 v125, 0.5, v22
	s_waitcnt lgkmcnt(0)
	s_barrier
	buffer_gl0_inv
	ds_read_b32 v32, v124
	ds_read_b32 v48, v123
	;; [unrolled: 1-line block ×6, first 2 shown]
	ds_read2_b32 v[8:9], v109 offset0:56 offset1:164
	ds_read2_b32 v[24:25], v117 offset0:104 offset1:212
	;; [unrolled: 1-line block ×12, first 2 shown]
	v_mul_f32_e32 v62, -0.5, v62
	v_add_f32_e32 v124, v59, v74
	v_sub_f32_e32 v58, v58, v75
	v_fmamk_f32 v122, v150, 0xbf5db3d7, v128
	v_fmac_f32_e32 v128, 0x3f5db3d7, v150
	v_fmac_f32_e32 v62, 0xbf5db3d7, v56
	v_add_f32_e32 v56, v132, v59
	v_fmac_f32_e32 v132, -0.5, v124
	v_mul_f32_e32 v59, 0xbf5db3d7, v131
	v_add_f32_e32 v72, v72, v126
	v_add_f32_e32 v123, v149, v151
	;; [unrolled: 1-line block ×3, first 2 shown]
	v_fmamk_f32 v74, v58, 0xbf5db3d7, v132
	v_fmac_f32_e32 v59, 0.5, v136
	v_add_f32_e32 v152, v122, v125
	v_add_f32_e32 v124, v128, v62
	v_sub_f32_e32 v122, v122, v125
	v_sub_f32_e32 v62, v128, v62
	;; [unrolled: 1-line block ×3, first 2 shown]
	v_add_f32_e32 v125, v56, v72
	v_add_f32_e32 v126, v74, v59
	s_waitcnt lgkmcnt(0)
	s_barrier
	buffer_gl0_inv
	ds_write2_b32 v127, v123, v152 offset1:90
	ds_write2_b32 v135, v124, v75 offset0:52 offset1:142
	ds_write2_b32 v55, v122, v62 offset0:104 offset1:194
	ds_write2_b32 v65, v125, v126 offset1:90
	v_add_f32_e32 v55, v52, v66
	v_add_f32_e32 v52, v133, v52
	v_sub_f32_e32 v51, v51, v73
	v_mul_f32_e32 v44, -0.5, v44
	v_add_f32_e32 v62, v129, v76
	v_fmac_f32_e32 v133, -0.5, v55
	v_sub_f32_e32 v55, v74, v59
	v_add_f32_e32 v52, v52, v66
	v_sub_f32_e32 v43, v43, v63
	v_mul_f32_e32 v50, -0.5, v50
	v_fmamk_f32 v59, v51, 0xbf5db3d7, v133
	v_fmac_f32_e32 v133, 0x3f5db3d7, v51
	v_add_f32_e32 v51, v42, v60
	v_add_f32_e32 v42, v134, v42
	v_fmac_f32_e32 v44, 0xbf5db3d7, v40
	v_add_f32_e32 v40, v52, v62
	v_sub_f32_e32 v52, v52, v62
	v_fmac_f32_e32 v134, -0.5, v51
	v_add_f32_e32 v42, v42, v60
	v_mul_f32_e32 v60, 0xbf5db3d7, v142
	v_fmac_f32_e32 v132, 0x3f5db3d7, v58
	v_mul_f32_e32 v58, 0xbf5db3d7, v138
	v_fmamk_f32 v62, v43, 0xbf5db3d7, v134
	v_fmac_f32_e32 v134, 0x3f5db3d7, v43
	v_fmac_f32_e32 v60, 0.5, v141
	v_add_f32_e32 v43, v37, v54
	v_fmac_f32_e32 v50, 0xbf5db3d7, v46
	v_mul_f32_e32 v38, -0.5, v38
	v_add_f32_e32 v37, v2, v37
	v_sub_f32_e32 v39, v39, v57
	v_fmac_f32_e32 v2, -0.5, v43
	v_add_f32_e32 v43, v62, v60
	v_sub_f32_e32 v57, v62, v60
	v_mul_f32_e32 v62, 0xbf5db3d7, v146
	v_mul_f32_e32 v35, -0.5, v35
	v_fmac_f32_e32 v58, 0.5, v130
	v_sub_f32_e32 v46, v56, v72
	v_add_f32_e32 v56, v132, v50
	v_add_f32_e32 v63, v140, v68
	v_fmac_f32_e32 v38, 0xbf5db3d7, v36
	v_add_f32_e32 v37, v37, v54
	v_add_f32_e32 v54, v144, v61
	v_fmamk_f32 v61, v39, 0xbf5db3d7, v2
	v_fmac_f32_e32 v62, 0.5, v145
	v_fmac_f32_e32 v2, 0x3f5db3d7, v39
	v_fmac_f32_e32 v35, 0xbf5db3d7, v34
	v_sub_f32_e32 v50, v132, v50
	v_add_f32_e32 v51, v59, v58
	v_sub_f32_e32 v58, v59, v58
	v_add_f32_e32 v59, v133, v44
	;; [unrolled: 2-line block ×7, first 2 shown]
	v_sub_f32_e32 v2, v2, v35
	ds_write2_b32 v137, v56, v46 offset0:52 offset1:142
	ds_write2_b32 v71, v55, v50 offset0:104 offset1:194
	ds_write2_b32 v69, v40, v51 offset1:90
	ds_write2_b32 v139, v59, v52 offset0:52 offset1:142
	ds_write2_b32 v70, v58, v44 offset0:104 offset1:194
	ds_write2_b32 v64, v36, v43 offset1:90
	;; [unrolled: 3-line block ×3, first 2 shown]
	ds_write2_b32 v148, v61, v37 offset0:52 offset1:142
	ds_write2_b32 v53, v54, v2 offset0:104 offset1:194
	s_waitcnt lgkmcnt(0)
	s_barrier
	buffer_gl0_inv
	s_and_saveexec_b32 s0, vcc_lo
	s_cbranch_execz .LBB0_15
; %bb.14:
	v_mul_u32_u24_e32 v2, 5, v99
	v_sub_nc_u32_e32 v46, 0, v114
	v_lshlrev_b32_e32 v34, 3, v2
	v_mul_i32_i24_e32 v2, 5, v105
	v_add_nc_u32_e32 v46, v47, v46
	v_add_co_u32 v36, s0, s8, v34
	v_add_co_ci_u32_e64 v37, null, s9, 0, s0
	v_lshlrev_b64 v[34:35], 3, v[2:3]
	v_add_co_u32 v38, vcc_lo, 0x10c8, v36
	v_add_co_ci_u32_e32 v39, vcc_lo, 0, v37, vcc_lo
	v_add_co_u32 v36, vcc_lo, 0x1000, v36
	v_add_co_ci_u32_e32 v37, vcc_lo, 0, v37, vcc_lo
	;; [unrolled: 2-line block ×3, first 2 shown]
	s_clause 0x2
	global_load_dwordx4 v[34:37], v[36:37], off offset:200
	global_load_dwordx2 v[42:43], v[38:39], off offset:32
	global_load_dwordx4 v[50:53], v[38:39], off offset:16
	v_add_co_u32 v38, vcc_lo, 0x1000, v2
	v_add_co_ci_u32_e32 v39, vcc_lo, 0, v40, vcc_lo
	v_add_co_u32 v62, vcc_lo, 0x10c8, v2
	v_add_co_ci_u32_e32 v63, vcc_lo, 0, v40, vcc_lo
	v_mul_i32_i24_e32 v2, 5, v104
	s_clause 0x2
	global_load_dwordx4 v[54:57], v[38:39], off offset:200
	global_load_dwordx4 v[58:61], v[62:63], off offset:16
	global_load_dwordx2 v[38:39], v[62:63], off offset:32
	v_lshlrev_b64 v[62:63], 3, v[2:3]
	v_add_co_u32 v2, vcc_lo, s8, v62
	v_add_co_ci_u32_e32 v40, vcc_lo, s9, v63, vcc_lo
	v_add_co_u32 v62, vcc_lo, 0x1000, v2
	v_add_co_ci_u32_e32 v63, vcc_lo, 0, v40, vcc_lo
	v_add_co_u32 v70, vcc_lo, 0x10c8, v2
	v_mul_i32_i24_e32 v2, 5, v103
	v_add_co_ci_u32_e32 v71, vcc_lo, 0, v40, vcc_lo
	s_clause 0x2
	global_load_dwordx4 v[62:65], v[62:63], off offset:200
	global_load_dwordx4 v[66:69], v[70:71], off offset:16
	global_load_dwordx2 v[74:75], v[70:71], off offset:32
	v_lshlrev_b64 v[70:71], 3, v[2:3]
	v_add_co_u32 v2, vcc_lo, s8, v70
	v_add_co_ci_u32_e32 v40, vcc_lo, s9, v71, vcc_lo
	v_add_co_u32 v70, vcc_lo, 0x1000, v2
	v_add_co_ci_u32_e32 v71, vcc_lo, 0, v40, vcc_lo
	v_add_co_u32 v103, vcc_lo, 0x10c8, v2
	v_mul_i32_i24_e32 v2, 5, v102
	v_add_co_ci_u32_e32 v104, vcc_lo, 0, v40, vcc_lo
	s_clause 0x2
	global_load_dwordx4 v[70:73], v[70:71], off offset:200
	global_load_dwordx4 v[122:125], v[103:104], off offset:16
	global_load_dwordx2 v[130:131], v[103:104], off offset:32
	v_lshlrev_b64 v[2:3], 3, v[2:3]
	v_add_co_u32 v40, vcc_lo, s8, v2
	v_add_co_ci_u32_e32 v44, vcc_lo, s9, v3, vcc_lo
	v_add_co_u32 v2, vcc_lo, 0x1000, v40
	v_add_co_ci_u32_e32 v3, vcc_lo, 0, v44, vcc_lo
	;; [unrolled: 2-line block ×3, first 2 shown]
	s_clause 0x2
	global_load_dwordx4 v[102:105], v[2:3], off offset:200
	global_load_dwordx4 v[126:129], v[132:133], off offset:16
	global_load_dwordx2 v[132:133], v[132:133], off offset:32
	v_sub_nc_u32_e32 v2, 0, v121
	v_sub_nc_u32_e32 v40, 0, v113
	v_add_co_u32 v0, vcc_lo, s12, v0
	v_add_co_ci_u32_e32 v1, vcc_lo, s13, v1, vcc_lo
	v_add_nc_u32_e32 v76, v45, v2
	ds_read2_b32 v[2:3], v109 offset0:56 offset1:164
	ds_read2_b32 v[44:45], v111 offset0:112 offset1:220
	;; [unrolled: 1-line block ×4, first 2 shown]
	ds_read_b32 v76, v76
	ds_read2_b32 v[134:135], v31 offset0:96 offset1:204
	ds_read2_b32 v[136:137], v119 offset0:24 offset1:132
	;; [unrolled: 1-line block ×8, first 2 shown]
	v_add_nc_u32_e32 v40, v49, v40
	ds_read_b32 v47, v108
	ds_read_b32 v49, v107
	;; [unrolled: 1-line block ×5, first 2 shown]
	s_waitcnt vmcnt(14) lgkmcnt(17)
	v_mul_f32_e32 v107, v37, v2
	v_mul_f32_e32 v121, v36, v2
	s_waitcnt vmcnt(12) lgkmcnt(16)
	v_mul_f32_e32 v108, v53, v44
	v_mul_f32_e32 v140, v52, v44
	s_waitcnt lgkmcnt(13)
	v_mul_f32_e32 v141, v35, v76
	v_mul_f32_e32 v2, v51, v114
	;; [unrolled: 1-line block ×6, first 2 shown]
	v_fma_f32 v107, v8, v36, -v107
	v_fmac_f32_e32 v121, v8, v37
	s_waitcnt vmcnt(11)
	v_mul_f32_e32 v142, v57, v113
	s_waitcnt vmcnt(10)
	v_mul_f32_e32 v143, v61, v117
	v_mul_f32_e32 v113, v56, v113
	;; [unrolled: 1-line block ×3, first 2 shown]
	s_waitcnt lgkmcnt(12)
	v_mul_f32_e32 v144, v55, v135
	s_waitcnt lgkmcnt(11)
	v_mul_f32_e32 v145, v59, v137
	s_waitcnt vmcnt(9) lgkmcnt(10)
	v_mul_f32_e32 v146, v39, v120
	v_mul_f32_e32 v137, v58, v137
	;; [unrolled: 1-line block ×4, first 2 shown]
	v_fma_f32 v147, v25, v50, -v2
	v_fma_f32 v148, v27, v42, -v44
	v_fmac_f32_e32 v114, v25, v51
	v_fmac_f32_e32 v118, v27, v43
	;; [unrolled: 1-line block ×3, first 2 shown]
	v_fma_f32 v2, v24, v56, -v142
	v_fma_f32 v8, v26, v60, -v143
	v_fmac_f32_e32 v113, v24, v57
	v_fmac_f32_e32 v117, v26, v61
	v_fma_f32 v24, v19, v54, -v144
	v_fma_f32 v25, v21, v58, -v145
	;; [unrolled: 1-line block ×3, first 2 shown]
	v_fmac_f32_e32 v137, v21, v59
	v_fmac_f32_e32 v120, v23, v39
	;; [unrolled: 1-line block ×3, first 2 shown]
	s_waitcnt vmcnt(8) lgkmcnt(9)
	v_mul_f32_e32 v19, v65, v110
	s_waitcnt vmcnt(7) lgkmcnt(8)
	v_mul_f32_e32 v21, v69, v112
	v_mul_f32_e32 v23, v64, v110
	v_mul_f32_e32 v27, v68, v112
	v_mul_f32_e32 v35, v63, v134
	v_mul_f32_e32 v36, v67, v136
	s_waitcnt vmcnt(6)
	v_mul_f32_e32 v37, v75, v119
	v_mul_f32_e32 v38, v66, v136
	;; [unrolled: 1-line block ×4, first 2 shown]
	v_sub_f32_e32 v43, v2, v8
	v_add_f32_e32 v44, v113, v117
	v_add_f32_e32 v51, v25, v26
	v_sub_f32_e32 v55, v25, v26
	v_add_f32_e32 v56, v137, v120
	s_waitcnt lgkmcnt(1)
	v_add_f32_e32 v57, v113, v46
	v_add_f32_e32 v58, v135, v137
	;; [unrolled: 1-line block ×5, first 2 shown]
	v_fma_f32 v19, v15, v64, -v19
	v_fma_f32 v21, v17, v68, -v21
	v_fmac_f32_e32 v23, v15, v65
	v_fmac_f32_e32 v27, v17, v69
	v_fma_f32 v15, v18, v62, -v35
	v_fma_f32 v17, v20, v66, -v36
	;; [unrolled: 1-line block ×3, first 2 shown]
	v_fmac_f32_e32 v38, v20, v67
	v_fmac_f32_e32 v39, v22, v75
	;; [unrolled: 1-line block ×3, first 2 shown]
	s_waitcnt vmcnt(5)
	v_mul_f32_e32 v18, v73, v109
	s_waitcnt vmcnt(4)
	v_mul_f32_e32 v20, v125, v111
	v_mul_f32_e32 v22, v72, v109
	v_mul_f32_e32 v36, v124, v111
	v_mul_f32_e32 v37, v71, v31
	v_mul_f32_e32 v61, v123, v139
	s_waitcnt vmcnt(3)
	v_mul_f32_e32 v62, v131, v116
	v_mul_f32_e32 v63, v122, v139
	;; [unrolled: 1-line block ×4, first 2 shown]
	v_sub_f32_e32 v54, v137, v120
	v_fma_f32 v44, -0.5, v44, v46
	v_fma_f32 v24, -0.5, v51, v24
	;; [unrolled: 1-line block ×3, first 2 shown]
	v_add_f32_e32 v51, v117, v57
	v_add_f32_e32 v56, v58, v120
	v_fma_f32 v48, -0.5, v59, v48
	v_add_f32_e32 v57, v2, v8
	v_add_f32_e32 v25, v25, v26
	;; [unrolled: 1-line block ×4, first 2 shown]
	v_sub_f32_e32 v65, v38, v39
	v_sub_f32_e32 v66, v17, v35
	v_add_f32_e32 v67, v38, v39
	s_waitcnt lgkmcnt(0)
	v_add_f32_e32 v68, v23, v40
	v_add_f32_e32 v38, v42, v38
	;; [unrolled: 1-line block ×4, first 2 shown]
	v_fma_f32 v18, v14, v72, -v18
	v_fma_f32 v20, v16, v124, -v20
	v_fmac_f32_e32 v22, v14, v73
	v_fmac_f32_e32 v36, v16, v125
	v_fma_f32 v14, v7, v70, -v37
	v_fma_f32 v16, v11, v122, -v61
	;; [unrolled: 1-line block ×3, first 2 shown]
	v_fmac_f32_e32 v63, v11, v123
	v_fmac_f32_e32 v64, v13, v131
	;; [unrolled: 1-line block ×3, first 2 shown]
	s_waitcnt vmcnt(2)
	v_mul_f32_e32 v11, v105, v3
	s_waitcnt vmcnt(1)
	v_mul_f32_e32 v13, v129, v45
	v_mul_f32_e32 v61, v104, v3
	;; [unrolled: 1-line block ×5, first 2 shown]
	s_waitcnt vmcnt(0)
	v_mul_f32_e32 v71, v133, v115
	v_sub_f32_e32 v60, v113, v117
	v_sub_f32_e32 v26, v19, v21
	;; [unrolled: 1-line block ×3, first 2 shown]
	v_add_f32_e32 v19, v41, v19
	v_mul_f32_e32 v72, v126, v138
	v_mul_f32_e32 v73, v132, v115
	;; [unrolled: 1-line block ×3, first 2 shown]
	v_fmamk_f32 v30, v54, 0xbf5db3d7, v24
	v_sub_f32_e32 v3, v51, v56
	v_sub_f32_e32 v2, v57, v25
	v_add_f32_e32 v8, v51, v56
	v_add_f32_e32 v7, v57, v25
	v_fma_f32 v25, -0.5, v58, v40
	v_fma_f32 v40, -0.5, v59, v15
	v_add_f32_e32 v27, v27, v68
	v_add_f32_e32 v38, v38, v39
	v_fma_f32 v39, -0.5, v69, v41
	v_add_f32_e32 v17, v17, v35
	v_sub_f32_e32 v35, v18, v20
	v_add_f32_e32 v41, v22, v36
	v_add_f32_e32 v51, v16, v37
	;; [unrolled: 1-line block ×5, first 2 shown]
	v_fma_f32 v11, v9, v104, -v11
	v_fma_f32 v13, v5, v128, -v13
	v_fmac_f32_e32 v61, v9, v105
	v_fmac_f32_e32 v45, v5, v129
	v_fma_f32 v5, v6, v102, -v62
	v_fma_f32 v9, v10, v126, -v70
	;; [unrolled: 1-line block ×3, first 2 shown]
	v_fmamk_f32 v75, v43, 0x3f5db3d7, v44
	v_fmamk_f32 v109, v55, 0x3f5db3d7, v46
	v_fmac_f32_e32 v44, 0xbf5db3d7, v43
	v_fmac_f32_e32 v46, 0xbf5db3d7, v55
	;; [unrolled: 1-line block ×3, first 2 shown]
	v_fmamk_f32 v43, v60, 0xbf5db3d7, v48
	v_fmac_f32_e32 v48, 0x3f5db3d7, v60
	v_fma_f32 v42, -0.5, v67, v42
	v_add_f32_e32 v19, v19, v21
	v_sub_f32_e32 v54, v63, v64
	v_sub_f32_e32 v55, v16, v37
	v_add_f32_e32 v57, v22, v47
	v_add_f32_e32 v58, v31, v63
	v_sub_f32_e32 v60, v22, v36
	v_add_f32_e32 v63, v14, v16
	v_fmac_f32_e32 v72, v10, v127
	v_fmac_f32_e32 v73, v12, v133
	;; [unrolled: 1-line block ×3, first 2 shown]
	v_mul_f32_e32 v68, -0.5, v30
	v_sub_f32_e32 v16, v27, v38
	v_add_f32_e32 v22, v27, v38
	v_fma_f32 v41, -0.5, v41, v47
	v_fma_f32 v38, -0.5, v51, v14
	;; [unrolled: 1-line block ×3, first 2 shown]
	v_add_f32_e32 v14, v18, v20
	v_add_f32_e32 v20, v9, v62
	v_mul_f32_e32 v67, 0xbf5db3d7, v24
	v_fmamk_f32 v71, v65, 0xbf5db3d7, v40
	v_fmamk_f32 v102, v66, 0x3f5db3d7, v42
	v_fmac_f32_e32 v42, 0xbf5db3d7, v66
	v_fmac_f32_e32 v40, 0x3f5db3d7, v65
	v_fmamk_f32 v65, v23, 0xbf5db3d7, v39
	v_fmac_f32_e32 v39, 0x3f5db3d7, v23
	v_sub_f32_e32 v15, v19, v17
	v_add_f32_e32 v21, v19, v17
	v_add_f32_e32 v6, v36, v57
	;; [unrolled: 1-line block ×3, first 2 shown]
	v_fma_f32 v51, -0.5, v59, v28
	v_add_f32_e32 v17, v63, v37
	v_sub_f32_e32 v18, v11, v13
	v_sub_f32_e32 v23, v72, v73
	v_add_f32_e32 v36, v72, v73
	v_add_f32_e32 v37, v61, v49
	;; [unrolled: 1-line block ×5, first 2 shown]
	v_fmac_f32_e32 v68, 0x3f5db3d7, v109
	v_fmamk_f32 v64, v54, 0xbf5db3d7, v38
	v_fmamk_f32 v66, v55, 0x3f5db3d7, v47
	v_fmac_f32_e32 v47, 0xbf5db3d7, v55
	v_fma_f32 v55, -0.5, v20, v5
	v_mul_f32_e32 v12, -0.5, v109
	v_mul_f32_e32 v69, 0x3f5db3d7, v46
	v_fmamk_f32 v70, v26, 0x3f5db3d7, v25
	v_fmac_f32_e32 v25, 0xbf5db3d7, v26
	v_add_f32_e32 v19, v61, v45
	v_sub_f32_e32 v26, v9, v62
	v_sub_f32_e32 v58, v61, v45
	v_add_f32_e32 v9, v5, v9
	v_fmac_f32_e32 v67, 0.5, v46
	v_mul_f32_e32 v46, 0xbf5db3d7, v40
	v_mul_f32_e32 v61, 0x3f5db3d7, v42
	v_fmac_f32_e32 v38, 0x3f5db3d7, v54
	v_fmamk_f32 v54, v60, 0xbf5db3d7, v51
	v_fmac_f32_e32 v51, 0x3f5db3d7, v60
	v_fma_f32 v60, -0.5, v36, v74
	v_add_f32_e32 v72, v45, v37
	v_add_f32_e32 v56, v56, v73
	v_fma_f32 v57, -0.5, v57, v33
	v_add_f32_e32 v73, v11, v13
	v_sub_f32_e32 v5, v43, v68
	v_add_f32_e32 v11, v43, v68
	v_mul_f32_e32 v43, -0.5, v64
	v_fmamk_f32 v45, v23, 0xbf5db3d7, v55
	v_fmac_f32_e32 v55, 0x3f5db3d7, v23
	v_fmac_f32_e32 v12, 0xbf5db3d7, v30
	v_sub_f32_e32 v28, v6, v10
	v_sub_f32_e32 v27, v14, v17
	v_add_f32_e32 v31, v6, v10
	v_add_f32_e32 v30, v14, v17
	v_sub_f32_e32 v10, v44, v67
	v_add_f32_e32 v14, v44, v67
	v_fmac_f32_e32 v46, 0.5, v42
	v_fmac_f32_e32 v61, 0.5, v40
	v_fmamk_f32 v67, v26, 0x3f5db3d7, v60
	v_fmac_f32_e32 v60, 0xbf5db3d7, v26
	v_fmamk_f32 v68, v58, 0xbf5db3d7, v57
	v_fmac_f32_e32 v57, 0x3f5db3d7, v58
	v_fmac_f32_e32 v43, 0x3f5db3d7, v66
	v_mul_f32_e32 v58, 0xbf5db3d7, v55
	v_fma_f32 v34, v32, v34, -v141
	v_add_f32_e32 v32, v147, v148
	v_add_f32_e32 v50, v114, v118
	v_fmac_f32_e32 v69, 0.5, v24
	v_mul_f32_e32 v24, -0.5, v102
	v_mul_f32_e32 v59, -0.5, v71
	v_fmamk_f32 v63, v35, 0x3f5db3d7, v41
	v_fmac_f32_e32 v41, 0xbf5db3d7, v35
	v_fma_f32 v49, -0.5, v19, v49
	v_mul_f32_e32 v40, -0.5, v66
	v_mul_f32_e32 v42, 0xbf5db3d7, v38
	v_sub_f32_e32 v20, v25, v46
	v_sub_f32_e32 v19, v39, v61
	v_add_f32_e32 v26, v25, v46
	v_add_f32_e32 v25, v39, v61
	v_mul_f32_e32 v61, 0x3f5db3d7, v60
	v_sub_f32_e32 v35, v54, v43
	v_add_f32_e32 v39, v54, v43
	v_fmac_f32_e32 v58, 0.5, v60
	v_fmac_f32_e32 v140, v4, v53
	v_fma_f32 v4, v4, v52, -v108
	v_fma_f32 v60, -0.5, v32, v34
	v_sub_f32_e32 v54, v114, v118
	v_add_f32_e32 v62, v9, v62
	v_sub_f32_e32 v9, v48, v69
	v_add_f32_e32 v13, v48, v69
	v_fmac_f32_e32 v24, 0xbf5db3d7, v71
	v_fmac_f32_e32 v59, 0x3f5db3d7, v102
	v_mul_f32_e32 v44, 0x3f5db3d7, v47
	v_fmamk_f32 v48, v18, 0x3f5db3d7, v49
	v_fmac_f32_e32 v49, 0xbf5db3d7, v18
	v_sub_f32_e32 v33, v72, v56
	v_fmac_f32_e32 v40, 0xbf5db3d7, v64
	v_fmac_f32_e32 v42, 0.5, v47
	v_mul_f32_e32 v47, -0.5, v67
	v_fmac_f32_e32 v61, 0.5, v55
	v_sub_f32_e32 v53, v147, v148
	v_fma_f32 v55, -0.5, v50, v76
	v_add_f32_e32 v50, v121, v140
	v_fmamk_f32 v66, v54, 0xbf5db3d7, v60
	v_add_f32_e32 v52, v72, v56
	v_fmac_f32_e32 v60, 0x3f5db3d7, v54
	v_add_f32_e32 v56, v107, v4
	v_sub_f32_e32 v18, v70, v24
	v_sub_f32_e32 v17, v65, v59
	v_add_f32_e32 v24, v70, v24
	v_add_f32_e32 v23, v65, v59
	v_mul_f32_e32 v59, -0.5, v45
	v_sub_f32_e32 v36, v63, v40
	v_add_f32_e32 v40, v63, v40
	v_fmac_f32_e32 v47, 0xbf5db3d7, v45
	v_sub_f32_e32 v46, v49, v58
	v_sub_f32_e32 v45, v57, v61
	v_fmamk_f32 v63, v53, 0x3f5db3d7, v55
	v_fma_f32 v65, -0.5, v50, v106
	v_add_f32_e32 v50, v49, v58
	v_add_f32_e32 v49, v57, v61
	v_fmac_f32_e32 v55, 0xbf5db3d7, v53
	v_mul_f32_e32 v61, 0xbf5db3d7, v60
	v_fma_f32 v70, -0.5, v56, v29
	v_sub_f32_e32 v56, v121, v140
	v_sub_f32_e32 v64, v107, v4
	;; [unrolled: 1-line block ×3, first 2 shown]
	v_add_f32_e32 v12, v75, v12
	v_fmac_f32_e32 v61, 0.5, v55
	v_fmamk_f32 v74, v56, 0xbf5db3d7, v70
	v_mul_f32_e32 v75, 0x3f5db3d7, v55
	v_fmac_f32_e32 v70, 0x3f5db3d7, v56
	v_mad_u64_u32 v[55:56], null, s2, v99, 0
	v_fmac_f32_e32 v44, 0.5, v38
	v_fmac_f32_e32 v59, 0x3f5db3d7, v67
	v_mul_f32_e32 v67, -0.5, v63
	v_fmamk_f32 v69, v64, 0x3f5db3d7, v65
	v_fmac_f32_e32 v65, 0xbf5db3d7, v64
	v_add_f32_e32 v53, v121, v106
	v_add_f32_e32 v57, v76, v114
	;; [unrolled: 1-line block ×3, first 2 shown]
	v_mul_f32_e32 v72, -0.5, v66
	v_sub_f32_e32 v38, v41, v42
	v_sub_f32_e32 v37, v51, v44
	v_add_f32_e32 v42, v41, v42
	v_add_f32_e32 v41, v51, v44
	v_sub_f32_e32 v32, v73, v62
	v_fmac_f32_e32 v67, 0xbf5db3d7, v66
	v_add_f32_e32 v51, v73, v62
	v_add_f32_e32 v71, v140, v53
	;; [unrolled: 1-line block ×3, first 2 shown]
	v_fmac_f32_e32 v75, 0.5, v60
	v_add_f32_e32 v29, v29, v4
	v_sub_f32_e32 v58, v65, v61
	v_mov_b32_e32 v4, v56
	v_add_f32_e32 v64, v65, v61
	v_mad_u64_u32 v[65:66], null, s2, v96, 0
	v_fmac_f32_e32 v72, 0x3f5db3d7, v63
	v_add_f32_e32 v34, v34, v147
	v_sub_f32_e32 v44, v48, v47
	v_sub_f32_e32 v43, v68, v59
	v_add_f32_e32 v48, v48, v47
	v_add_f32_e32 v47, v68, v59
	v_sub_f32_e32 v54, v69, v67
	v_sub_f32_e32 v60, v71, v73
	;; [unrolled: 1-line block ×3, first 2 shown]
	v_add_f32_e32 v62, v69, v67
	v_mad_u64_u32 v[67:68], null, s3, v99, v[4:5]
	v_add_f32_e32 v69, v71, v73
	v_add_f32_e32 v63, v70, v75
	v_mad_u64_u32 v[70:71], null, s2, v100, 0
	v_sub_f32_e32 v53, v74, v72
	v_add_f32_e32 v61, v74, v72
	v_mad_u64_u32 v[72:73], null, s2, v101, 0
	v_mov_b32_e32 v4, v66
	v_add_f32_e32 v34, v34, v148
	v_mov_b32_e32 v56, v67
	v_mad_u64_u32 v[66:67], null, s3, v96, v[4:5]
	v_mov_b32_e32 v4, v71
	v_sub_f32_e32 v59, v29, v34
	v_add_f32_e32 v68, v29, v34
	v_mov_b32_e32 v29, v73
	v_lshlrev_b64 v[55:56], 3, v[55:56]
	v_mad_u64_u32 v[73:74], null, s3, v100, v[4:5]
	v_mad_u64_u32 v[99:100], null, s2, v98, 0
	;; [unrolled: 1-line block ×3, first 2 shown]
	v_lshlrev_b64 v[65:66], 3, v[65:66]
	v_add_co_u32 v55, vcc_lo, v0, v55
	v_mov_b32_e32 v71, v73
	v_add_co_ci_u32_e32 v56, vcc_lo, v1, v56, vcc_lo
	v_mov_b32_e32 v73, v74
	v_mad_u64_u32 v[74:75], null, s2, v97, 0
	v_lshlrev_b64 v[70:71], 3, v[70:71]
	v_add_co_u32 v65, vcc_lo, v0, v65
	v_lshlrev_b64 v[72:73], 3, v[72:73]
	v_add_co_ci_u32_e32 v66, vcc_lo, v1, v66, vcc_lo
	v_mov_b32_e32 v4, v75
	v_add_co_u32 v70, vcc_lo, v0, v70
	v_add_co_ci_u32_e32 v71, vcc_lo, v1, v71, vcc_lo
	v_mad_u64_u32 v[75:76], null, s3, v97, v[4:5]
	v_mov_b32_e32 v4, v100
	v_add_co_u32 v72, vcc_lo, v0, v72
	v_add_co_ci_u32_e32 v73, vcc_lo, v1, v73, vcc_lo
	v_mad_u64_u32 v[96:97], null, s3, v98, v[4:5]
	v_mad_u64_u32 v[97:98], null, s2, v93, 0
	global_store_dwordx2 v[55:56], v[68:69], off
	global_store_dwordx2 v[65:66], v[63:64], off
	;; [unrolled: 1-line block ×4, first 2 shown]
	v_lshlrev_b64 v[55:56], 3, v[74:75]
	v_mad_u64_u32 v[59:60], null, s2, v90, 0
	v_mov_b32_e32 v100, v96
	v_mad_u64_u32 v[66:67], null, s2, v95, 0
	v_mov_b32_e32 v4, v98
	v_add_co_u32 v55, vcc_lo, v0, v55
	v_lshlrev_b64 v[61:62], 3, v[99:100]
	v_add_co_ci_u32_e32 v56, vcc_lo, v1, v56, vcc_lo
	v_mad_u64_u32 v[63:64], null, s3, v93, v[4:5]
	v_mov_b32_e32 v4, v60
	v_mad_u64_u32 v[64:65], null, s2, v94, 0
	v_add_co_u32 v60, vcc_lo, v0, v61
	v_add_co_ci_u32_e32 v61, vcc_lo, v1, v62, vcc_lo
	v_mov_b32_e32 v98, v63
	v_mad_u64_u32 v[62:63], null, s3, v90, v[4:5]
	global_store_dwordx2 v[55:56], v[57:58], off
	global_store_dwordx2 v[60:61], v[53:54], off
	v_mov_b32_e32 v4, v65
	v_lshlrev_b64 v[53:54], 3, v[97:98]
	v_mad_u64_u32 v[55:56], null, s3, v94, v[4:5]
	v_mov_b32_e32 v60, v62
	v_mov_b32_e32 v4, v67
	v_add_co_u32 v53, vcc_lo, v0, v53
	v_add_co_ci_u32_e32 v54, vcc_lo, v1, v54, vcc_lo
	v_lshlrev_b64 v[56:57], 3, v[59:60]
	v_mad_u64_u32 v[58:59], null, s3, v95, v[4:5]
	v_mad_u64_u32 v[59:60], null, s2, v91, 0
	global_store_dwordx2 v[53:54], v[51:52], off
	v_mad_u64_u32 v[53:54], null, s2, v92, 0
	v_mov_b32_e32 v65, v55
	v_add_co_u32 v55, vcc_lo, v0, v56
	v_add_co_ci_u32_e32 v56, vcc_lo, v1, v57, vcc_lo
	v_lshlrev_b64 v[51:52], 3, v[64:65]
	v_mov_b32_e32 v4, v60
	v_mov_b32_e32 v29, v54
	v_mov_b32_e32 v67, v58
	global_store_dwordx2 v[55:56], v[49:50], off
	v_mad_u64_u32 v[54:55], null, s3, v91, v[4:5]
	v_add_co_u32 v49, vcc_lo, v0, v51
	v_mad_u64_u32 v[55:56], null, s3, v92, v[29:30]
	v_mad_u64_u32 v[56:57], null, s2, v87, 0
	v_add_co_ci_u32_e32 v50, vcc_lo, v1, v52, vcc_lo
	v_lshlrev_b64 v[51:52], 3, v[66:67]
	v_mov_b32_e32 v60, v54
	v_mov_b32_e32 v54, v55
	global_store_dwordx2 v[49:50], v[47:48], off
	v_mov_b32_e32 v4, v57
	v_add_co_u32 v51, vcc_lo, v0, v51
	v_add_co_ci_u32_e32 v52, vcc_lo, v1, v52, vcc_lo
	v_mad_u64_u32 v[49:50], null, s3, v87, v[4:5]
	v_lshlrev_b64 v[47:48], 3, v[53:54]
	global_store_dwordx2 v[51:52], v[32:33], off
	v_mad_u64_u32 v[50:51], null, s2, v85, 0
	v_mad_u64_u32 v[52:53], null, s2, v89, 0
	v_mov_b32_e32 v57, v49
	v_lshlrev_b64 v[32:33], 3, v[59:60]
	v_mov_b32_e32 v4, v51
	v_mov_b32_e32 v29, v53
	v_lshlrev_b64 v[53:54], 3, v[56:57]
	v_add_co_u32 v32, vcc_lo, v0, v32
	v_mad_u64_u32 v[55:56], null, s3, v85, v[4:5]
	v_mad_u64_u32 v[56:57], null, s3, v89, v[29:30]
	;; [unrolled: 1-line block ×3, first 2 shown]
	v_add_co_ci_u32_e32 v33, vcc_lo, v1, v33, vcc_lo
	v_add_co_u32 v47, vcc_lo, v0, v47
	v_add_co_ci_u32_e32 v48, vcc_lo, v1, v48, vcc_lo
	v_add_co_u32 v53, vcc_lo, v0, v53
	v_add_co_ci_u32_e32 v54, vcc_lo, v1, v54, vcc_lo
	v_mov_b32_e32 v4, v58
	global_store_dwordx2 v[32:33], v[45:46], off
	global_store_dwordx2 v[47:48], v[43:44], off
	v_mad_u64_u32 v[45:46], null, s2, v86, 0
	global_store_dwordx2 v[53:54], v[30:31], off
	v_mad_u64_u32 v[31:32], null, s3, v88, v[4:5]
	v_mad_u64_u32 v[32:33], null, s2, v84, 0
	v_mov_b32_e32 v51, v55
	v_mov_b32_e32 v53, v56
	v_mad_u64_u32 v[47:48], null, s2, v81, 0
	v_mov_b32_e32 v58, v31
	v_lshlrev_b64 v[29:30], 3, v[50:51]
	v_mov_b32_e32 v4, v33
	v_mov_b32_e32 v31, v46
	v_lshlrev_b64 v[43:44], 3, v[52:53]
	v_lshlrev_b64 v[33:34], 3, v[57:58]
	v_mad_u64_u32 v[53:54], null, s2, v80, 0
	v_mad_u64_u32 v[49:50], null, s3, v84, v[4:5]
	v_add_co_u32 v29, vcc_lo, v0, v29
	v_mad_u64_u32 v[50:51], null, s3, v86, v[31:32]
	v_add_co_ci_u32_e32 v30, vcc_lo, v1, v30, vcc_lo
	v_add_co_u32 v43, vcc_lo, v0, v43
	v_mov_b32_e32 v4, v48
	v_add_co_ci_u32_e32 v44, vcc_lo, v1, v44, vcc_lo
	v_add_co_u32 v51, vcc_lo, v0, v33
	v_mov_b32_e32 v33, v49
	v_add_co_ci_u32_e32 v52, vcc_lo, v1, v34, vcc_lo
	v_mad_u64_u32 v[48:49], null, s3, v81, v[4:5]
	v_mov_b32_e32 v46, v50
	global_store_dwordx2 v[29:30], v[41:42], off
	global_store_dwordx2 v[43:44], v[39:40], off
	v_lshlrev_b64 v[29:30], 3, v[32:33]
	v_mov_b32_e32 v4, v54
	global_store_dwordx2 v[51:52], v[27:28], off
	v_lshlrev_b64 v[27:28], 3, v[45:46]
	v_mad_u64_u32 v[39:40], null, s2, v83, 0
	v_add_co_u32 v29, vcc_lo, v0, v29
	v_lshlrev_b64 v[31:32], 3, v[47:48]
	v_mad_u64_u32 v[33:34], null, s3, v80, v[4:5]
	v_add_co_ci_u32_e32 v30, vcc_lo, v1, v30, vcc_lo
	v_add_co_u32 v27, vcc_lo, v0, v27
	v_add_co_ci_u32_e32 v28, vcc_lo, v1, v28, vcc_lo
	v_add_co_u32 v31, vcc_lo, v0, v31
	v_mov_b32_e32 v4, v40
	v_add_co_ci_u32_e32 v32, vcc_lo, v1, v32, vcc_lo
	v_mov_b32_e32 v54, v33
	v_mad_u64_u32 v[33:34], null, s2, v82, 0
	global_store_dwordx2 v[29:30], v[37:38], off
	global_store_dwordx2 v[27:28], v[35:36], off
	;; [unrolled: 1-line block ×3, first 2 shown]
	v_mad_u64_u32 v[27:28], null, s3, v83, v[4:5]
	v_lshlrev_b64 v[21:22], 3, v[53:54]
	v_mad_u64_u32 v[28:29], null, s2, v78, 0
	v_mov_b32_e32 v4, v34
	v_add_co_u32 v21, vcc_lo, v0, v21
	v_mov_b32_e32 v40, v27
	v_mul_hi_u32 v27, 0xf2b9d649, v77
	v_add_co_ci_u32_e32 v22, vcc_lo, v1, v22, vcc_lo
	v_mad_u64_u32 v[30:31], null, s3, v82, v[4:5]
	v_mov_b32_e32 v4, v29
	v_mad_u64_u32 v[31:32], null, s2, v79, 0
	global_store_dwordx2 v[21:22], v[25:26], off
	v_lshlrev_b64 v[21:22], 3, v[39:40]
	v_mad_u64_u32 v[25:26], null, s3, v78, v[4:5]
	v_lshrrev_b32_e32 v26, 9, v27
	v_mov_b32_e32 v34, v30
	v_mov_b32_e32 v4, v32
	v_add_co_u32 v21, vcc_lo, v0, v21
	v_mad_u32_u24 v30, 0xa8c, v26, v77
	v_lshlrev_b64 v[26:27], 3, v[33:34]
	v_mad_u64_u32 v[32:33], null, s3, v79, v[4:5]
	v_add_co_ci_u32_e32 v22, vcc_lo, v1, v22, vcc_lo
	v_mad_u64_u32 v[33:34], null, s2, v30, 0
	v_mov_b32_e32 v29, v25
	v_add_co_u32 v25, vcc_lo, v0, v26
	v_add_co_ci_u32_e32 v26, vcc_lo, v1, v27, vcc_lo
	global_store_dwordx2 v[21:22], v[23:24], off
	v_mov_b32_e32 v4, v34
	v_lshlrev_b64 v[21:22], 3, v[28:29]
	global_store_dwordx2 v[25:26], v[15:16], off
	v_lshlrev_b64 v[15:16], 3, v[31:32]
	v_add_nc_u32_e32 v25, 0x21c, v30
	v_mad_u64_u32 v[23:24], null, s3, v30, v[4:5]
	v_add_co_u32 v21, vcc_lo, v0, v21
	v_add_co_ci_u32_e32 v22, vcc_lo, v1, v22, vcc_lo
	v_add_co_u32 v15, vcc_lo, v0, v15
	v_add_co_ci_u32_e32 v16, vcc_lo, v1, v16, vcc_lo
	v_mov_b32_e32 v34, v23
	v_mad_u64_u32 v[23:24], null, s2, v25, 0
	v_add_nc_u32_e32 v26, 0x438, v30
	v_add_nc_u32_e32 v28, 0x654, v30
	global_store_dwordx2 v[21:22], v[19:20], off
	global_store_dwordx2 v[15:16], v[17:18], off
	v_add_nc_u32_e32 v31, 0x870, v30
	v_mad_u64_u32 v[17:18], null, s2, v26, 0
	v_mad_u64_u32 v[19:20], null, s2, v28, 0
	v_mov_b32_e32 v4, v24
	v_lshlrev_b64 v[15:16], 3, v[33:34]
	v_add_nc_u32_e32 v30, 0xa8c, v30
	v_mad_u64_u32 v[21:22], null, s3, v25, v[4:5]
	v_mad_u64_u32 v[25:26], null, s3, v26, v[18:19]
	;; [unrolled: 1-line block ×3, first 2 shown]
	v_mov_b32_e32 v4, v20
	v_add_co_u32 v15, vcc_lo, v0, v15
	v_add_co_ci_u32_e32 v16, vcc_lo, v1, v16, vcc_lo
	v_mad_u64_u32 v[28:29], null, s3, v28, v[4:5]
	v_mov_b32_e32 v24, v21
	v_mad_u64_u32 v[21:22], null, s2, v30, 0
	v_mov_b32_e32 v4, v27
	global_store_dwordx2 v[15:16], v[7:8], off
	v_mov_b32_e32 v18, v25
	v_lshlrev_b64 v[7:8], 3, v[23:24]
	v_mov_b32_e32 v20, v28
	v_mad_u64_u32 v[15:16], null, s3, v31, v[4:5]
	v_mov_b32_e32 v4, v22
	v_lshlrev_b64 v[16:17], 3, v[17:18]
	v_add_co_u32 v7, vcc_lo, v0, v7
	v_lshlrev_b64 v[18:19], 3, v[19:20]
	v_mad_u64_u32 v[22:23], null, s3, v30, v[4:5]
	v_mov_b32_e32 v27, v15
	v_add_co_ci_u32_e32 v8, vcc_lo, v1, v8, vcc_lo
	v_add_co_u32 v15, vcc_lo, v0, v16
	v_add_co_ci_u32_e32 v16, vcc_lo, v1, v17, vcc_lo
	v_lshlrev_b64 v[23:24], 3, v[26:27]
	v_add_co_u32 v17, vcc_lo, v0, v18
	v_add_co_ci_u32_e32 v18, vcc_lo, v1, v19, vcc_lo
	v_lshlrev_b64 v[19:20], 3, v[21:22]
	v_add_co_u32 v21, vcc_lo, v0, v23
	v_add_co_ci_u32_e32 v22, vcc_lo, v1, v24, vcc_lo
	v_add_co_u32 v0, vcc_lo, v0, v19
	v_add_co_ci_u32_e32 v1, vcc_lo, v1, v20, vcc_lo
	global_store_dwordx2 v[7:8], v[13:14], off
	global_store_dwordx2 v[15:16], v[11:12], off
	;; [unrolled: 1-line block ×5, first 2 shown]
.LBB0_15:
	s_endpgm
	.section	.rodata,"a",@progbits
	.p2align	6, 0x0
	.amdhsa_kernel fft_rtc_fwd_len3240_factors_3_3_10_6_6_wgs_108_tpt_108_halfLds_sp_ip_CI_sbrr_dirReg
		.amdhsa_group_segment_fixed_size 0
		.amdhsa_private_segment_fixed_size 0
		.amdhsa_kernarg_size 88
		.amdhsa_user_sgpr_count 6
		.amdhsa_user_sgpr_private_segment_buffer 1
		.amdhsa_user_sgpr_dispatch_ptr 0
		.amdhsa_user_sgpr_queue_ptr 0
		.amdhsa_user_sgpr_kernarg_segment_ptr 1
		.amdhsa_user_sgpr_dispatch_id 0
		.amdhsa_user_sgpr_flat_scratch_init 0
		.amdhsa_user_sgpr_private_segment_size 0
		.amdhsa_wavefront_size32 1
		.amdhsa_uses_dynamic_stack 0
		.amdhsa_system_sgpr_private_segment_wavefront_offset 0
		.amdhsa_system_sgpr_workgroup_id_x 1
		.amdhsa_system_sgpr_workgroup_id_y 0
		.amdhsa_system_sgpr_workgroup_id_z 0
		.amdhsa_system_sgpr_workgroup_info 0
		.amdhsa_system_vgpr_workitem_id 0
		.amdhsa_next_free_vgpr 180
		.amdhsa_next_free_sgpr 23
		.amdhsa_reserve_vcc 1
		.amdhsa_reserve_flat_scratch 0
		.amdhsa_float_round_mode_32 0
		.amdhsa_float_round_mode_16_64 0
		.amdhsa_float_denorm_mode_32 3
		.amdhsa_float_denorm_mode_16_64 3
		.amdhsa_dx10_clamp 1
		.amdhsa_ieee_mode 1
		.amdhsa_fp16_overflow 0
		.amdhsa_workgroup_processor_mode 1
		.amdhsa_memory_ordered 1
		.amdhsa_forward_progress 0
		.amdhsa_shared_vgpr_count 0
		.amdhsa_exception_fp_ieee_invalid_op 0
		.amdhsa_exception_fp_denorm_src 0
		.amdhsa_exception_fp_ieee_div_zero 0
		.amdhsa_exception_fp_ieee_overflow 0
		.amdhsa_exception_fp_ieee_underflow 0
		.amdhsa_exception_fp_ieee_inexact 0
		.amdhsa_exception_int_div_zero 0
	.end_amdhsa_kernel
	.text
.Lfunc_end0:
	.size	fft_rtc_fwd_len3240_factors_3_3_10_6_6_wgs_108_tpt_108_halfLds_sp_ip_CI_sbrr_dirReg, .Lfunc_end0-fft_rtc_fwd_len3240_factors_3_3_10_6_6_wgs_108_tpt_108_halfLds_sp_ip_CI_sbrr_dirReg
                                        ; -- End function
	.section	.AMDGPU.csdata,"",@progbits
; Kernel info:
; codeLenInByte = 18616
; NumSgprs: 25
; NumVgprs: 180
; ScratchSize: 0
; MemoryBound: 0
; FloatMode: 240
; IeeeMode: 1
; LDSByteSize: 0 bytes/workgroup (compile time only)
; SGPRBlocks: 3
; VGPRBlocks: 22
; NumSGPRsForWavesPerEU: 25
; NumVGPRsForWavesPerEU: 180
; Occupancy: 5
; WaveLimiterHint : 1
; COMPUTE_PGM_RSRC2:SCRATCH_EN: 0
; COMPUTE_PGM_RSRC2:USER_SGPR: 6
; COMPUTE_PGM_RSRC2:TRAP_HANDLER: 0
; COMPUTE_PGM_RSRC2:TGID_X_EN: 1
; COMPUTE_PGM_RSRC2:TGID_Y_EN: 0
; COMPUTE_PGM_RSRC2:TGID_Z_EN: 0
; COMPUTE_PGM_RSRC2:TIDIG_COMP_CNT: 0
	.text
	.p2alignl 6, 3214868480
	.fill 48, 4, 3214868480
	.type	__hip_cuid_7caba77af6f83cca,@object ; @__hip_cuid_7caba77af6f83cca
	.section	.bss,"aw",@nobits
	.globl	__hip_cuid_7caba77af6f83cca
__hip_cuid_7caba77af6f83cca:
	.byte	0                               ; 0x0
	.size	__hip_cuid_7caba77af6f83cca, 1

	.ident	"AMD clang version 19.0.0git (https://github.com/RadeonOpenCompute/llvm-project roc-6.4.0 25133 c7fe45cf4b819c5991fe208aaa96edf142730f1d)"
	.section	".note.GNU-stack","",@progbits
	.addrsig
	.addrsig_sym __hip_cuid_7caba77af6f83cca
	.amdgpu_metadata
---
amdhsa.kernels:
  - .args:
      - .actual_access:  read_only
        .address_space:  global
        .offset:         0
        .size:           8
        .value_kind:     global_buffer
      - .offset:         8
        .size:           8
        .value_kind:     by_value
      - .actual_access:  read_only
        .address_space:  global
        .offset:         16
        .size:           8
        .value_kind:     global_buffer
      - .actual_access:  read_only
        .address_space:  global
        .offset:         24
        .size:           8
        .value_kind:     global_buffer
      - .offset:         32
        .size:           8
        .value_kind:     by_value
      - .actual_access:  read_only
        .address_space:  global
        .offset:         40
        .size:           8
        .value_kind:     global_buffer
      - .actual_access:  read_only
        .address_space:  global
        .offset:         48
        .size:           8
        .value_kind:     global_buffer
      - .offset:         56
        .size:           4
        .value_kind:     by_value
      - .actual_access:  read_only
        .address_space:  global
        .offset:         64
        .size:           8
        .value_kind:     global_buffer
      - .actual_access:  read_only
        .address_space:  global
        .offset:         72
        .size:           8
        .value_kind:     global_buffer
      - .address_space:  global
        .offset:         80
        .size:           8
        .value_kind:     global_buffer
    .group_segment_fixed_size: 0
    .kernarg_segment_align: 8
    .kernarg_segment_size: 88
    .language:       OpenCL C
    .language_version:
      - 2
      - 0
    .max_flat_workgroup_size: 108
    .name:           fft_rtc_fwd_len3240_factors_3_3_10_6_6_wgs_108_tpt_108_halfLds_sp_ip_CI_sbrr_dirReg
    .private_segment_fixed_size: 0
    .sgpr_count:     25
    .sgpr_spill_count: 0
    .symbol:         fft_rtc_fwd_len3240_factors_3_3_10_6_6_wgs_108_tpt_108_halfLds_sp_ip_CI_sbrr_dirReg.kd
    .uniform_work_group_size: 1
    .uses_dynamic_stack: false
    .vgpr_count:     180
    .vgpr_spill_count: 0
    .wavefront_size: 32
    .workgroup_processor_mode: 1
amdhsa.target:   amdgcn-amd-amdhsa--gfx1030
amdhsa.version:
  - 1
  - 2
...

	.end_amdgpu_metadata
